;; amdgpu-corpus repo=ROCm/rocFFT kind=compiled arch=gfx1201 opt=O3
	.text
	.amdgcn_target "amdgcn-amd-amdhsa--gfx1201"
	.amdhsa_code_object_version 6
	.protected	bluestein_single_back_len480_dim1_dp_op_CI_CI ; -- Begin function bluestein_single_back_len480_dim1_dp_op_CI_CI
	.globl	bluestein_single_back_len480_dim1_dp_op_CI_CI
	.p2align	8
	.type	bluestein_single_back_len480_dim1_dp_op_CI_CI,@function
bluestein_single_back_len480_dim1_dp_op_CI_CI: ; @bluestein_single_back_len480_dim1_dp_op_CI_CI
; %bb.0:
	s_load_b128 s[16:19], s[0:1], 0x28
	v_lshrrev_b32_e32 v46, 4, v0
	v_mov_b32_e32 v5, 0
	s_mov_b32 s2, exec_lo
	s_delay_alu instid0(VALU_DEP_2) | instskip(SKIP_1) | instid1(VALU_DEP_1)
	v_lshl_or_b32 v4, ttmp9, 2, v46
	s_wait_kmcnt 0x0
	v_cmpx_gt_u64_e64 s[16:17], v[4:5]
	s_cbranch_execz .LBB0_10
; %bb.1:
	s_clause 0x1
	s_load_b128 s[4:7], s[0:1], 0x18
	s_load_b128 s[8:11], s[0:1], 0x0
	v_dual_mov_b32 v5, v4 :: v_dual_and_b32 v150, 15, v0
	v_mul_u32_u24_e32 v144, 0x1e0, v46
	s_mov_b32 s16, 0x134454ff
	s_mov_b32 s17, 0x3fee6f0e
	s_delay_alu instid0(VALU_DEP_2)
	v_lshlrev_b32_e32 v215, 4, v150
	scratch_store_b64 off, v[5:6], off offset:40 ; 8-byte Folded Spill
	s_mov_b32 s21, 0xbfee6f0e
	s_wait_alu 0xfffe
	s_mov_b32 s20, s16
	v_lshl_or_b32 v214, v144, 4, v215
	s_wait_kmcnt 0x0
	s_load_b128 s[12:15], s[4:5], 0x0
	s_wait_kmcnt 0x0
	v_mad_co_u64_u32 v[0:1], null, s14, v4, 0
	v_mad_co_u64_u32 v[2:3], null, s12, v150, 0
	s_mul_u64 s[2:3], s[12:13], 0x300
	s_mul_i32 s4, s13, 0xffffe600
	s_delay_alu instid0(SALU_CYCLE_1) | instskip(NEXT) | instid1(VALU_DEP_1)
	s_sub_co_i32 s4, s4, s12
	v_mad_co_u64_u32 v[4:5], null, s15, v4, v[1:2]
	s_mov_b32 s14, 0x372fe950
	s_mov_b32 s15, 0x3fd3c6ef
	s_delay_alu instid0(VALU_DEP_1) | instskip(SKIP_2) | instid1(VALU_DEP_1)
	v_mad_co_u64_u32 v[5:6], null, s13, v150, v[3:4]
	v_mov_b32_e32 v1, v4
	s_mov_b32 s13, 0xbfe2cf23
	v_lshlrev_b64_e32 v[0:1], 4, v[0:1]
	s_delay_alu instid0(VALU_DEP_3) | instskip(NEXT) | instid1(VALU_DEP_2)
	v_mov_b32_e32 v3, v5
	v_add_co_u32 v0, vcc_lo, s18, v0
	s_delay_alu instid0(VALU_DEP_2) | instskip(NEXT) | instid1(VALU_DEP_4)
	v_lshlrev_b64_e32 v[2:3], 4, v[2:3]
	v_add_co_ci_u32_e32 v1, vcc_lo, s19, v1, vcc_lo
	s_mov_b32 s18, 0x9b97f4a8
	s_mov_b32 s19, 0x3fe9e377
	s_delay_alu instid0(VALU_DEP_2)
	v_add_co_u32 v0, vcc_lo, v0, v2
	s_wait_alu 0xfffd
	v_add_co_ci_u32_e32 v1, vcc_lo, v1, v3, vcc_lo
	global_load_b128 v[73:76], v215, s[8:9]
	global_load_b128 v[24:27], v[0:1], off
	v_add_co_u32 v0, vcc_lo, v0, s2
	s_wait_alu 0xfffd
	v_add_co_ci_u32_e32 v1, vcc_lo, s3, v1, vcc_lo
	s_delay_alu instid0(VALU_DEP_2) | instskip(SKIP_1) | instid1(VALU_DEP_2)
	v_add_co_u32 v2, vcc_lo, v0, s2
	s_wait_alu 0xfffd
	v_add_co_ci_u32_e32 v3, vcc_lo, s3, v1, vcc_lo
	global_load_b128 v[89:92], v215, s[8:9] offset:768
	global_load_b128 v[12:15], v[0:1], off
	global_load_b128 v[81:84], v215, s[8:9] offset:1536
	global_load_b128 v[4:7], v[2:3], off
	v_add_co_u32 v0, vcc_lo, v2, s2
	s_wait_alu 0xfffd
	v_add_co_ci_u32_e32 v1, vcc_lo, s3, v3, vcc_lo
	global_load_b128 v[77:80], v215, s[8:9] offset:2304
	v_add_co_u32 v16, vcc_lo, v0, s2
	s_wait_alu 0xfffd
	v_add_co_ci_u32_e32 v17, vcc_lo, s3, v1, vcc_lo
	global_load_b128 v[8:11], v[0:1], off
	global_load_b128 v[85:88], v215, s[8:9] offset:3072
	global_load_b128 v[0:3], v[16:17], off
	v_add_co_u32 v16, vcc_lo, v16, s2
	s_wait_alu 0xfffd
	v_add_co_ci_u32_e32 v17, vcc_lo, s3, v17, vcc_lo
	global_load_b128 v[61:64], v215, s[8:9] offset:3840
	v_add_co_u32 v28, vcc_lo, v16, s2
	s_wait_alu 0xfffd
	v_add_co_ci_u32_e32 v29, vcc_lo, s3, v17, vcc_lo
	;; [unrolled: 10-line block ×3, first 2 shown]
	global_load_b128 v[28:31], v[28:29], off
	global_load_b128 v[69:72], v215, s[8:9] offset:6144
	global_load_b128 v[32:35], v[36:37], off
	v_add_co_u32 v36, vcc_lo, v36, s2
	s_wait_alu 0xfffd
	v_add_co_ci_u32_e32 v37, vcc_lo, s3, v37, vcc_lo
	global_load_b128 v[97:100], v215, s[8:9] offset:6912
	v_mad_co_u64_u32 v[44:45], null, 0xffffe600, s12, v[36:37]
	s_delay_alu instid0(VALU_DEP_1)
	v_add_nc_u32_e32 v45, s4, v45
	global_load_b128 v[36:39], v[36:37], off
	global_load_b128 v[93:96], v215, s[8:9] offset:256
	global_load_b128 v[40:43], v[44:45], off
	v_add_co_u32 v44, vcc_lo, v44, s2
	s_wait_alu 0xfffd
	v_add_co_ci_u32_e32 v45, vcc_lo, s3, v45, vcc_lo
	s_wait_loadcnt 0x15
	scratch_store_b128 off, v[73:76], off offset:112 ; 16-byte Folded Spill
	s_wait_loadcnt 0x14
	v_mul_f64_e32 v[47:48], v[26:27], v[75:76]
	v_mul_f64_e32 v[49:50], v[24:25], v[75:76]
	s_wait_loadcnt 0x13
	scratch_store_b128 off, v[89:92], off offset:176 ; 16-byte Folded Spill
	s_wait_loadcnt 0x12
	v_mul_f64_e32 v[51:52], v[14:15], v[91:92]
	v_mul_f64_e32 v[53:54], v[12:13], v[91:92]
	s_wait_loadcnt 0x10
	v_mul_f64_e32 v[55:56], v[6:7], v[83:84]
	scratch_store_b128 off, v[81:84], off offset:144 ; 16-byte Folded Spill
	s_wait_loadcnt 0xf
	scratch_store_b128 off, v[77:80], off offset:128 ; 16-byte Folded Spill
	s_wait_loadcnt 0xd
	;; [unrolled: 2-line block ×5, first 2 shown]
	scratch_store_b128 off, v[57:60], off offset:48 ; 16-byte Folded Spill
	v_fma_f64 v[24:25], v[24:25], v[73:74], v[47:48]
	v_mul_f64_e32 v[47:48], v[4:5], v[83:84]
	v_fma_f64 v[26:27], v[26:27], v[73:74], -v[49:50]
	v_mul_f64_e32 v[49:50], v[10:11], v[79:80]
	s_wait_loadcnt 0x5
	scratch_store_b128 off, v[69:72], off offset:96 ; 16-byte Folded Spill
	v_fma_f64 v[12:13], v[12:13], v[89:90], v[51:52]
	v_fma_f64 v[14:15], v[14:15], v[89:90], -v[53:54]
	v_mul_f64_e32 v[51:52], v[8:9], v[79:80]
	v_mul_f64_e32 v[53:54], v[2:3], v[87:88]
	v_fma_f64 v[4:5], v[4:5], v[81:82], v[55:56]
	v_mul_f64_e32 v[55:56], v[18:19], v[63:64]
	s_wait_loadcnt 0x1
	scratch_store_b128 off, v[93:96], off offset:192 ; 16-byte Folded Spill
	v_fma_f64 v[6:7], v[6:7], v[81:82], -v[47:48]
	v_mul_f64_e32 v[47:48], v[0:1], v[87:88]
	v_fma_f64 v[8:9], v[8:9], v[77:78], v[49:50]
	v_mul_f64_e32 v[49:50], v[16:17], v[63:64]
	v_fma_f64 v[10:11], v[10:11], v[77:78], -v[51:52]
	v_mul_f64_e32 v[51:52], v[22:23], v[67:68]
	v_fma_f64 v[0:1], v[0:1], v[85:86], v[53:54]
	v_mul_f64_e32 v[53:54], v[30:31], v[59:60]
	v_fma_f64 v[16:17], v[16:17], v[61:62], v[55:56]
	v_mul_f64_e32 v[55:56], v[34:35], v[71:72]
	v_fma_f64 v[2:3], v[2:3], v[85:86], -v[47:48]
	v_mul_f64_e32 v[47:48], v[20:21], v[67:68]
	v_fma_f64 v[18:19], v[18:19], v[61:62], -v[49:50]
	v_mul_f64_e32 v[49:50], v[28:29], v[59:60]
	v_fma_f64 v[20:21], v[20:21], v[65:66], v[51:52]
	v_mul_f64_e32 v[51:52], v[38:39], v[99:100]
	v_fma_f64 v[28:29], v[28:29], v[57:58], v[53:54]
	s_wait_loadcnt 0x0
	v_mul_f64_e32 v[53:54], v[42:43], v[95:96]
	v_fma_f64 v[22:23], v[22:23], v[65:66], -v[47:48]
	v_mul_f64_e32 v[47:48], v[32:33], v[71:72]
	v_fma_f64 v[30:31], v[30:31], v[57:58], -v[49:50]
	v_mul_f64_e32 v[49:50], v[36:37], v[99:100]
	v_fma_f64 v[32:33], v[32:33], v[69:70], v[55:56]
	global_load_b128 v[55:58], v215, s[8:9] offset:1024
	scratch_store_b128 off, v[97:100], off offset:208 ; 16-byte Folded Spill
	v_fma_f64 v[36:37], v[36:37], v[97:98], v[51:52]
	v_fma_f64 v[34:35], v[34:35], v[69:70], -v[47:48]
	v_mul_f64_e32 v[47:48], v[40:41], v[95:96]
	v_fma_f64 v[38:39], v[38:39], v[97:98], -v[49:50]
	v_fma_f64 v[40:41], v[40:41], v[93:94], v[53:54]
	s_delay_alu instid0(VALU_DEP_3)
	v_fma_f64 v[42:43], v[42:43], v[93:94], -v[47:48]
	global_load_b128 v[47:50], v[44:45], off
	v_add_co_u32 v44, vcc_lo, v44, s2
	s_wait_alu 0xfffd
	v_add_co_ci_u32_e32 v45, vcc_lo, s3, v45, vcc_lo
	s_wait_loadcnt 0x1
	scratch_store_b128 off, v[55:58], off offset:368 ; 16-byte Folded Spill
	s_wait_loadcnt 0x0
	v_mul_f64_e32 v[51:52], v[49:50], v[57:58]
	v_mul_f64_e32 v[53:54], v[47:48], v[57:58]
	s_delay_alu instid0(VALU_DEP_2) | instskip(NEXT) | instid1(VALU_DEP_2)
	v_fma_f64 v[47:48], v[47:48], v[55:56], v[51:52]
	v_fma_f64 v[49:50], v[49:50], v[55:56], -v[53:54]
	global_load_b128 v[59:62], v215, s[8:9] offset:1792
	global_load_b128 v[51:54], v[44:45], off
	v_add_co_u32 v44, vcc_lo, v44, s2
	s_wait_alu 0xfffd
	v_add_co_ci_u32_e32 v45, vcc_lo, s3, v45, vcc_lo
	s_wait_loadcnt 0x1
	scratch_store_b128 off, v[59:62], off offset:432 ; 16-byte Folded Spill
	s_wait_loadcnt 0x0
	v_mul_f64_e32 v[55:56], v[53:54], v[61:62]
	v_mul_f64_e32 v[57:58], v[51:52], v[61:62]
	s_delay_alu instid0(VALU_DEP_2) | instskip(NEXT) | instid1(VALU_DEP_2)
	v_fma_f64 v[51:52], v[51:52], v[59:60], v[55:56]
	v_fma_f64 v[53:54], v[53:54], v[59:60], -v[57:58]
	global_load_b128 v[63:66], v215, s[8:9] offset:2560
	;; [unrolled: 13-line block ×8, first 2 shown]
	global_load_b128 v[79:82], v[44:45], off
	v_mad_co_u64_u32 v[44:45], null, 0xffffe600, s12, v[44:45]
	s_delay_alu instid0(VALU_DEP_1)
	v_add_nc_u32_e32 v45, s4, v45
	s_wait_loadcnt 0x1
	scratch_store_b128 off, v[87:90], off offset:224 ; 16-byte Folded Spill
	s_wait_loadcnt 0x0
	v_mul_f64_e32 v[83:84], v[81:82], v[89:90]
	v_mul_f64_e32 v[85:86], v[79:80], v[89:90]
	s_delay_alu instid0(VALU_DEP_2) | instskip(NEXT) | instid1(VALU_DEP_2)
	v_fma_f64 v[79:80], v[79:80], v[87:88], v[83:84]
	v_fma_f64 v[81:82], v[81:82], v[87:88], -v[85:86]
	global_load_b128 v[91:94], v215, s[8:9] offset:512
	global_load_b128 v[83:86], v[44:45], off
	v_add_co_u32 v44, vcc_lo, v44, s2
	s_wait_alu 0xfffd
	v_add_co_ci_u32_e32 v45, vcc_lo, s3, v45, vcc_lo
	s_wait_loadcnt 0x1
	scratch_store_b128 off, v[91:94], off offset:240 ; 16-byte Folded Spill
	s_wait_loadcnt 0x0
	v_mul_f64_e32 v[87:88], v[85:86], v[93:94]
	v_mul_f64_e32 v[89:90], v[83:84], v[93:94]
	s_delay_alu instid0(VALU_DEP_2) | instskip(NEXT) | instid1(VALU_DEP_2)
	v_fma_f64 v[83:84], v[83:84], v[91:92], v[87:88]
	v_fma_f64 v[85:86], v[85:86], v[91:92], -v[89:90]
	global_load_b128 v[95:98], v215, s[8:9] offset:1280
	global_load_b128 v[87:90], v[44:45], off
	v_add_co_u32 v44, vcc_lo, v44, s2
	s_wait_alu 0xfffd
	v_add_co_ci_u32_e32 v45, vcc_lo, s3, v45, vcc_lo
	;; [unrolled: 13-line block ×9, first 2 shown]
	s_mov_b32 s2, 0x4755a5e
	s_mov_b32 s3, 0x3fe2cf23
	s_wait_alu 0xfffe
	s_mov_b32 s12, s2
	s_wait_loadcnt 0x1
	scratch_store_b128 off, v[123:126], off offset:480 ; 16-byte Folded Spill
	s_wait_loadcnt 0x0
	v_mul_f64_e32 v[119:120], v[117:118], v[125:126]
	v_mul_f64_e32 v[121:122], v[115:116], v[125:126]
	s_delay_alu instid0(VALU_DEP_2) | instskip(NEXT) | instid1(VALU_DEP_2)
	v_fma_f64 v[115:116], v[115:116], v[123:124], v[119:120]
	v_fma_f64 v[117:118], v[117:118], v[123:124], -v[121:122]
	global_load_b128 v[119:122], v[44:45], off
	global_load_b128 v[125:128], v215, s[8:9] offset:7424
	s_wait_loadcnt 0x0
	v_mul_f64_e32 v[44:45], v[121:122], v[127:128]
	v_mul_f64_e32 v[123:124], v[119:120], v[127:128]
	scratch_store_b128 off, v[125:128], off offset:512 ; 16-byte Folded Spill
	v_fma_f64 v[119:120], v[119:120], v[125:126], v[44:45]
	v_fma_f64 v[121:122], v[121:122], v[125:126], -v[123:124]
	v_or_b32_e32 v44, v144, v150
	s_delay_alu instid0(VALU_DEP_1)
	v_lshlrev_b32_e32 v145, 4, v44
	ds_store_b128 v145, v[24:27]
	ds_store_b128 v214, v[12:15] offset:768
	ds_store_b128 v214, v[4:7] offset:1536
	ds_store_b128 v214, v[8:11] offset:2304
	ds_store_b128 v214, v[0:3] offset:3072
	ds_store_b128 v214, v[16:19] offset:3840
	ds_store_b128 v214, v[20:23] offset:4608
	ds_store_b128 v214, v[28:31] offset:5376
	ds_store_b128 v214, v[32:35] offset:6144
	ds_store_b128 v214, v[36:39] offset:6912
	ds_store_b128 v214, v[40:43] offset:256
	ds_store_b128 v214, v[47:50] offset:1024
	ds_store_b128 v214, v[51:54] offset:1792
	ds_store_b128 v214, v[55:58] offset:2560
	ds_store_b128 v214, v[59:62] offset:3328
	ds_store_b128 v214, v[63:66] offset:4096
	ds_store_b128 v214, v[67:70] offset:4864
	ds_store_b128 v214, v[71:74] offset:5632
	ds_store_b128 v214, v[75:78] offset:6400
	ds_store_b128 v214, v[79:82] offset:7168
	ds_store_b128 v214, v[83:86] offset:512
	ds_store_b128 v214, v[87:90] offset:1280
	ds_store_b128 v214, v[91:94] offset:2048
	ds_store_b128 v214, v[95:98] offset:2816
	ds_store_b128 v214, v[99:102] offset:3584
	ds_store_b128 v214, v[103:106] offset:4352
	ds_store_b128 v214, v[107:110] offset:5120
	ds_store_b128 v214, v[111:114] offset:5888
	ds_store_b128 v214, v[115:118] offset:6656
	ds_store_b128 v214, v[119:122] offset:7424
	s_load_b128 s[4:7], s[6:7], 0x0
	global_wb scope:SCOPE_SE
	s_wait_storecnt_dscnt 0x0
	s_wait_kmcnt 0x0
	s_barrier_signal -1
	s_barrier_wait -1
	global_inv scope:SCOPE_SE
	ds_load_b128 v[4:7], v214 offset:1536
	ds_load_b128 v[0:3], v145
	ds_load_b128 v[12:15], v214 offset:3072
	ds_load_b128 v[28:31], v214 offset:4608
	s_wait_dscnt 0x2
	v_add_f64_e32 v[8:9], v[0:1], v[4:5]
	s_wait_dscnt 0x1
	v_add_f64_e64 v[44:45], v[4:5], -v[12:13]
	s_wait_dscnt 0x0
	v_add_f64_e32 v[200:201], v[12:13], v[28:29]
	v_add_f64_e64 v[20:21], v[14:15], -v[30:31]
	v_add_f64_e32 v[202:203], v[14:15], v[30:31]
	v_add_f64_e64 v[22:23], v[12:13], -v[28:29]
	v_add_f64_e64 v[46:47], v[6:7], -v[14:15]
	v_add_f64_e32 v[36:37], v[8:9], v[12:13]
	v_add_f64_e32 v[8:9], v[2:3], v[6:7]
	s_delay_alu instid0(VALU_DEP_1)
	v_add_f64_e32 v[38:39], v[8:9], v[14:15]
	v_add_f64_e64 v[8:9], v[12:13], -v[4:5]
	scratch_store_b64 off, v[8:9], off      ; 8-byte Folded Spill
	v_add_f64_e64 v[8:9], v[14:15], -v[6:7]
	ds_load_b128 v[12:15], v214 offset:6144
	s_wait_dscnt 0x0
	v_add_f64_e64 v[24:25], v[6:7], -v[14:15]
	v_add_f64_e32 v[16:17], v[4:5], v[12:13]
	v_add_f64_e64 v[26:27], v[4:5], -v[12:13]
	v_add_f64_e32 v[18:19], v[6:7], v[14:15]
	v_add_f64_e32 v[4:5], v[36:37], v[28:29]
	v_add_f64_e32 v[6:7], v[38:39], v[30:31]
	v_add_f64_e64 v[50:51], v[12:13], -v[28:29]
	v_add_f64_e64 v[38:39], v[28:29], -v[12:13]
	;; [unrolled: 1-line block ×4, first 2 shown]
	scratch_store_b64 off, v[8:9], off offset:8 ; 8-byte Folded Spill
	v_add_f64_e32 v[12:13], v[4:5], v[12:13]
	v_add_f64_e32 v[14:15], v[6:7], v[14:15]
	ds_load_b128 v[4:7], v214 offset:768
	ds_load_b128 v[56:59], v214 offset:2304
	;; [unrolled: 1-line block ×9, first 2 shown]
	s_wait_dscnt 0x7
	v_add_f64_e32 v[28:29], v[4:5], v[56:57]
	s_wait_dscnt 0x6
	v_add_f64_e64 v[64:65], v[56:57], -v[60:61]
	v_add_f64_e64 v[48:49], v[60:61], -v[56:57]
	s_wait_dscnt 0x4
	v_add_f64_e32 v[174:175], v[56:57], v[76:77]
	v_add_f64_e64 v[36:37], v[56:57], -v[76:77]
	v_add_f64_e32 v[206:207], v[60:61], v[68:69]
	v_add_f64_e32 v[210:211], v[62:63], v[70:71]
	v_add_f64_e64 v[30:31], v[60:61], -v[68:69]
	v_add_f64_e64 v[66:67], v[58:59], -v[62:63]
	v_add_f64_e64 v[54:55], v[62:63], -v[58:59]
	v_add_f64_e64 v[40:41], v[58:59], -v[78:79]
	v_add_f64_e32 v[178:179], v[58:59], v[78:79]
	s_wait_dscnt 0x1
	v_add_f64_e32 v[196:197], v[82:83], v[98:99]
	v_add_f64_e32 v[230:231], v[84:85], v[100:101]
	s_wait_dscnt 0x0
	v_add_f64_e64 v[92:93], v[98:99], -v[94:95]
	v_add_f64_e32 v[72:73], v[28:29], v[60:61]
	v_add_f64_e32 v[28:29], v[6:7], v[58:59]
	v_add_f64_e64 v[60:61], v[68:69], -v[76:77]
	v_fma_f64 v[212:213], v[174:175], -0.5, v[4:5]
	v_fma_f64 v[208:209], v[206:207], -0.5, v[4:5]
	v_fma_f64 v[206:207], v[210:211], -0.5, v[6:7]
	v_fma_f64 v[210:211], v[178:179], -0.5, v[6:7]
	v_fma_f64 v[196:197], v[196:197], -0.5, v[166:167]
	v_add_f64_e32 v[56:57], v[72:73], v[68:69]
	v_add_f64_e32 v[74:75], v[28:29], v[62:63]
	v_add_f64_e64 v[28:29], v[62:63], -v[70:71]
	v_add_f64_e64 v[72:73], v[76:77], -v[68:69]
	;; [unrolled: 1-line block ×3, first 2 shown]
	v_add_f64_e32 v[48:49], v[48:49], v[60:61]
	v_fma_f64 v[60:61], v[30:31], s[16:17], v[210:211]
	v_add_f64_e32 v[188:189], v[56:57], v[76:77]
	v_add_f64_e32 v[58:59], v[74:75], v[70:71]
	v_add_f64_e64 v[74:75], v[78:79], -v[70:71]
	ds_load_b128 v[68:71], v214 offset:3328
	v_add_f64_e32 v[56:57], v[166:167], v[82:83]
	v_add_f64_e32 v[54:55], v[54:55], v[62:63]
	v_fma_f64 v[62:63], v[28:29], s[20:21], v[212:213]
	v_fma_f64 v[60:61], v[36:37], s[12:13], v[60:61]
	s_wait_dscnt 0x0
	v_add_f64_e64 v[8:9], v[68:69], -v[82:83]
	v_add_f64_e32 v[192:193], v[68:69], v[94:95]
	v_add_f64_e64 v[80:81], v[82:83], -v[68:69]
	v_add_f64_e32 v[194:195], v[70:71], v[96:97]
	v_add_f64_e64 v[76:77], v[84:85], -v[70:71]
	v_add_f64_e32 v[226:227], v[12:13], v[188:189]
	v_add_f64_e32 v[190:191], v[58:59], v[78:79]
	v_add_f64_e64 v[58:59], v[68:69], -v[94:95]
	v_add_f64_e64 v[78:79], v[96:97], -v[100:101]
	v_add_f64_e32 v[86:87], v[56:57], v[68:69]
	v_add_f64_e32 v[56:57], v[168:169], v[84:85]
	v_add_f64_e64 v[68:69], v[84:85], -v[100:101]
	v_fma_f64 v[62:63], v[40:41], s[2:3], v[62:63]
	v_fma_f64 v[60:61], v[54:55], s[14:15], v[60:61]
	scratch_store_b64 off, v[8:9], off offset:24 ; 8-byte Folded Spill
	v_add_f64_e64 v[8:9], v[70:71], -v[84:85]
	v_add_f64_e32 v[228:229], v[14:15], v[190:191]
	v_add_f64_e32 v[86:87], v[86:87], v[94:95]
	;; [unrolled: 1-line block ×3, first 2 shown]
	v_add_f64_e64 v[56:57], v[70:71], -v[96:97]
	v_add_f64_e64 v[70:71], v[82:83], -v[98:99]
	;; [unrolled: 1-line block ×4, first 2 shown]
	v_fma_f64 v[62:63], v[48:49], s[14:15], v[62:63]
	scratch_store_b64 off, v[8:9], off offset:528 ; 8-byte Folded Spill
	ds_load_b128 v[108:111], v214 offset:2560
	ds_load_b128 v[170:173], v214 offset:1024
	;; [unrolled: 1-line block ×4, first 2 shown]
	v_add_f64_e32 v[232:233], v[86:87], v[98:99]
	v_add_f64_e32 v[90:91], v[90:91], v[96:97]
	ds_load_b128 v[96:99], v214 offset:4096
	s_wait_dscnt 0x3
	v_add_f64_e32 v[86:87], v[170:171], v[108:109]
	ds_load_b128 v[218:221], v214 offset:512
	ds_load_b128 v[130:133], v214 offset:2048
	s_wait_dscnt 0x3
	v_add_f64_e32 v[240:241], v[108:109], v[124:125]
	v_add_f64_e32 v[242:243], v[110:111], v[126:127]
	v_add_f64_e64 v[120:121], v[124:125], -v[116:117]
	v_add_f64_e64 v[122:123], v[126:127], -v[118:119]
	ds_load_b128 v[146:149], v214 offset:6656
	ds_load_b128 v[134:137], v214 offset:5120
	s_wait_dscnt 0x4
	v_add_f64_e32 v[236:237], v[96:97], v[116:117]
	v_add_f64_e64 v[106:107], v[108:109], -v[96:97]
	v_add_f64_e32 v[238:239], v[98:99], v[118:119]
	v_add_f64_e64 v[114:115], v[110:111], -v[98:99]
	v_add_f64_e64 v[104:105], v[98:99], -v[110:111]
	s_wait_dscnt 0x1
	v_add_f64_e32 v[252:253], v[130:131], v[146:147]
	s_wait_dscnt 0x0
	v_add_f64_e64 v[32:33], v[148:149], -v[136:137]
	v_add_f64_e32 v[234:235], v[90:91], v[100:101]
	v_add_f64_e64 v[100:101], v[96:97], -v[108:109]
	v_add_f64_e32 v[102:103], v[86:87], v[96:97]
	v_add_f64_e32 v[86:87], v[172:173], v[110:111]
	v_add_f64_e64 v[90:91], v[96:97], -v[116:117]
	v_add_f64_e64 v[96:97], v[108:109], -v[124:125]
	v_fma_f64 v[178:179], v[252:253], -0.5, v[218:219]
	v_add_f64_e32 v[102:103], v[102:103], v[116:117]
	v_add_f64_e32 v[112:113], v[86:87], v[98:99]
	v_add_f64_e64 v[86:87], v[98:99], -v[118:119]
	v_add_f64_e64 v[98:99], v[110:111], -v[126:127]
	v_add_f64_e64 v[110:111], v[116:117], -v[124:125]
	v_add_f64_e32 v[244:245], v[102:103], v[124:125]
	v_add_f64_e32 v[102:103], v[218:219], v[130:131]
	v_add_f64_e32 v[108:109], v[112:113], v[118:119]
	v_add_f64_e64 v[112:113], v[118:119], -v[126:127]
	ds_load_b128 v[116:119], v214 offset:3584
	ds_load_b128 v[222:225], v214 offset:1280
	;; [unrolled: 1-line block ×5, first 2 shown]
	s_wait_dscnt 0x4
	v_add_f64_e32 v[248:249], v[116:117], v[134:135]
	v_add_f64_e64 v[84:85], v[130:131], -v[116:117]
	v_add_f64_e64 v[124:125], v[116:117], -v[130:131]
	v_add_f64_e32 v[250:251], v[118:119], v[136:137]
	v_add_f64_e64 v[34:35], v[132:133], -v[118:119]
	s_wait_dscnt 0x1
	v_add_f64_e32 v[10:11], v[158:159], v[186:187]
	v_add_f64_e32 v[8:9], v[156:157], v[184:185]
	;; [unrolled: 1-line block ×5, first 2 shown]
	v_add_f64_e64 v[108:109], v[116:117], -v[134:135]
	v_add_f64_e64 v[126:127], v[118:119], -v[132:133]
	v_add_f64_e64 v[116:117], v[132:133], -v[148:149]
	v_add_f64_e32 v[142:143], v[102:103], v[118:119]
	v_add_f64_e64 v[102:103], v[118:119], -v[136:137]
	v_add_f64_e64 v[118:119], v[130:131], -v[146:147]
	v_add_f64_e32 v[130:131], v[132:133], v[148:149]
	v_add_f64_e32 v[132:133], v[140:141], v[134:135]
	;; [unrolled: 1-line block ×3, first 2 shown]
	v_add_f64_e64 v[142:143], v[146:147], -v[134:135]
	v_add_f64_e64 v[134:135], v[134:135], -v[146:147]
	;; [unrolled: 1-line block ×3, first 2 shown]
	v_add_f64_e32 v[254:255], v[132:133], v[146:147]
	v_add_f64_e32 v[132:133], v[222:223], v[156:157]
	v_fma_f64 v[174:175], v[130:131], -0.5, v[220:221]
	v_add_f64_e32 v[128:129], v[140:141], v[148:149]
	ds_load_b128 v[146:149], v214 offset:4352
	global_wb scope:SCOPE_SE
	s_wait_storecnt_dscnt 0x0
	s_barrier_signal -1
	s_barrier_wait -1
	global_inv scope:SCOPE_SE
	v_add_f64_e32 v[176:177], v[132:133], v[146:147]
	v_add_f64_e32 v[132:133], v[224:225], v[158:159]
	;; [unrolled: 1-line block ×3, first 2 shown]
	v_add_f64_e64 v[154:155], v[156:157], -v[146:147]
	v_add_f64_e64 v[88:89], v[146:147], -v[156:157]
	v_add_f64_e32 v[138:139], v[148:149], v[182:183]
	v_add_f64_e64 v[140:141], v[146:147], -v[180:181]
	v_add_f64_e64 v[164:165], v[158:159], -v[148:149]
	;; [unrolled: 1-line block ×5, first 2 shown]
	v_add_f64_e32 v[204:205], v[176:177], v[180:181]
	v_add_f64_e32 v[198:199], v[132:133], v[148:149]
	v_add_f64_e64 v[132:133], v[148:149], -v[182:183]
	v_add_f64_e64 v[148:149], v[158:159], -v[186:187]
	;; [unrolled: 1-line block ×5, first 2 shown]
	v_add_f64_e32 v[160:161], v[204:205], v[184:185]
	v_add_f64_e32 v[198:199], v[198:199], v[182:183]
	v_fma_f64 v[204:205], v[16:17], -0.5, v[0:1]
	v_fma_f64 v[182:183], v[192:193], -0.5, v[166:167]
	;; [unrolled: 1-line block ×4, first 2 shown]
	v_add_f64_e32 v[138:139], v[66:67], v[74:75]
	v_fma_f64 v[184:185], v[194:195], -0.5, v[168:169]
	v_fma_f64 v[194:195], v[230:231], -0.5, v[168:169]
	;; [unrolled: 1-line block ×5, first 2 shown]
	v_add_f64_e32 v[16:17], v[232:233], v[244:245]
	v_add_f64_e64 v[4:5], v[254:255], -v[160:161]
	v_add_f64_e32 v[162:163], v[198:199], v[186:187]
	v_fma_f64 v[198:199], v[200:201], -0.5, v[0:1]
	v_fma_f64 v[200:201], v[202:203], -0.5, v[2:3]
	;; [unrolled: 1-line block ×3, first 2 shown]
	v_add_f64_e64 v[0:1], v[12:13], -v[188:189]
	v_add_f64_e64 v[2:3], v[14:15], -v[190:191]
	v_add_f64_e32 v[18:19], v[234:235], v[246:247]
	v_add_f64_e64 v[14:15], v[234:235], -v[246:247]
	v_mov_b32_e32 v246, v150
	v_fma_f64 v[188:189], v[236:237], -0.5, v[170:171]
	v_fma_f64 v[170:171], v[10:11], -0.5, v[224:225]
	;; [unrolled: 1-line block ×5, first 2 shown]
	v_add_f64_e32 v[8:9], v[254:255], v[160:161]
	v_add_f64_e64 v[12:13], v[232:233], -v[244:245]
	v_mov_b32_e32 v247, v145
	v_add_f64_e32 v[10:11], v[128:129], v[162:163]
	v_add_f64_e64 v[6:7], v[128:129], -v[162:163]
	v_mul_u32_u24_e32 v128, 10, v246
	s_delay_alu instid0(VALU_DEP_1)
	v_add_lshl_u32 v130, v144, v128, 4
	ds_store_b128 v130, v[226:229]
	ds_store_b128 v130, v[0:3] offset:80
	v_add_f64_e32 v[0:1], v[44:45], v[50:51]
	v_fma_f64 v[44:45], v[40:41], s[16:17], v[208:209]
	v_add_f64_e32 v[2:3], v[46:47], v[52:53]
	v_add_f64_e32 v[128:129], v[64:65], v[72:73]
	v_fma_f64 v[46:47], v[36:37], s[20:21], v[206:207]
	s_delay_alu instid0(VALU_DEP_4) | instskip(NEXT) | instid1(VALU_DEP_2)
	v_fma_f64 v[44:45], v[28:29], s[2:3], v[44:45]
	v_fma_f64 v[46:47], v[30:31], s[12:13], v[46:47]
	s_delay_alu instid0(VALU_DEP_2) | instskip(NEXT) | instid1(VALU_DEP_2)
	v_fma_f64 v[44:45], v[128:129], s[14:15], v[44:45]
	v_fma_f64 v[46:47], v[138:139], s[14:15], v[46:47]
	s_delay_alu instid0(VALU_DEP_2) | instskip(SKIP_1) | instid1(VALU_DEP_2)
	v_mul_f64_e32 v[50:51], s[18:19], v[44:45]
	v_mul_f64_e32 v[44:45], s[12:13], v[44:45]
	v_fma_f64 v[50:51], v[46:47], s[2:3], v[50:51]
	s_delay_alu instid0(VALU_DEP_2) | instskip(SKIP_2) | instid1(VALU_DEP_2)
	v_fma_f64 v[52:53], v[46:47], s[18:19], v[44:45]
	v_fma_f64 v[44:45], v[24:25], s[16:17], v[198:199]
	;; [unrolled: 1-line block ×4, first 2 shown]
	s_delay_alu instid0(VALU_DEP_2) | instskip(NEXT) | instid1(VALU_DEP_2)
	v_fma_f64 v[46:47], v[22:23], s[12:13], v[46:47]
	v_fma_f64 v[64:65], v[0:1], s[14:15], v[44:45]
	s_delay_alu instid0(VALU_DEP_2) | instskip(NEXT) | instid1(VALU_DEP_2)
	v_fma_f64 v[66:67], v[2:3], s[14:15], v[46:47]
	v_add_f64_e32 v[44:45], v[64:65], v[50:51]
	v_add_f64_e64 v[50:51], v[64:65], -v[50:51]
	scratch_load_b64 v[64:65], off, off th:TH_LOAD_LU ; 8-byte Folded Reload
	v_add_f64_e32 v[46:47], v[66:67], v[52:53]
	v_add_f64_e64 v[52:53], v[66:67], -v[52:53]
	s_wait_loadcnt 0x0
	v_add_f64_e32 v[38:39], v[64:65], v[38:39]
	scratch_load_b64 v[64:65], off, off offset:8 th:TH_LOAD_LU ; 8-byte Folded Reload
	s_wait_loadcnt 0x0
	v_add_f64_e32 v[42:43], v[64:65], v[42:43]
	v_mul_f64_e32 v[64:65], s[16:17], v[60:61]
	s_delay_alu instid0(VALU_DEP_1) | instskip(SKIP_1) | instid1(VALU_DEP_1)
	v_fma_f64 v[64:65], v[62:63], s[14:15], v[64:65]
	v_mul_f64_e32 v[62:63], s[20:21], v[62:63]
	v_fma_f64 v[66:67], v[60:61], s[14:15], v[62:63]
	v_fma_f64 v[60:61], v[20:21], s[20:21], v[204:205]
	;; [unrolled: 1-line block ×3, first 2 shown]
	s_delay_alu instid0(VALU_DEP_2) | instskip(NEXT) | instid1(VALU_DEP_2)
	v_fma_f64 v[60:61], v[24:25], s[2:3], v[60:61]
	v_fma_f64 v[62:63], v[26:27], s[12:13], v[62:63]
	s_delay_alu instid0(VALU_DEP_2) | instskip(NEXT) | instid1(VALU_DEP_2)
	v_fma_f64 v[72:73], v[38:39], s[14:15], v[60:61]
	v_fma_f64 v[74:75], v[42:43], s[14:15], v[62:63]
	s_delay_alu instid0(VALU_DEP_2) | instskip(SKIP_2) | instid1(VALU_DEP_4)
	v_add_f64_e32 v[60:61], v[72:73], v[64:65]
	v_add_f64_e64 v[64:65], v[72:73], -v[64:65]
	v_fma_f64 v[72:73], v[20:21], s[16:17], v[204:205]
	v_add_f64_e32 v[62:63], v[74:75], v[66:67]
	v_add_f64_e64 v[66:67], v[74:75], -v[66:67]
	s_delay_alu instid0(VALU_DEP_3) | instskip(SKIP_1) | instid1(VALU_DEP_2)
	v_fma_f64 v[72:73], v[24:25], s[12:13], v[72:73]
	v_fma_f64 v[24:25], v[24:25], s[20:21], v[198:199]
	;; [unrolled: 1-line block ×4, first 2 shown]
	s_delay_alu instid0(VALU_DEP_3) | instskip(NEXT) | instid1(VALU_DEP_2)
	v_fma_f64 v[20:21], v[20:21], s[12:13], v[24:25]
	v_fma_f64 v[72:73], v[26:27], s[2:3], v[72:73]
	;; [unrolled: 1-line block ×3, first 2 shown]
	s_delay_alu instid0(VALU_DEP_3) | instskip(NEXT) | instid1(VALU_DEP_3)
	v_fma_f64 v[0:1], v[0:1], s[14:15], v[20:21]
	v_fma_f64 v[42:43], v[42:43], s[14:15], v[72:73]
	;; [unrolled: 1-line block ×3, first 2 shown]
	s_delay_alu instid0(VALU_DEP_4) | instskip(NEXT) | instid1(VALU_DEP_2)
	v_fma_f64 v[22:23], v[22:23], s[2:3], v[26:27]
	v_fma_f64 v[72:73], v[40:41], s[12:13], v[72:73]
	s_delay_alu instid0(VALU_DEP_2) | instskip(NEXT) | instid1(VALU_DEP_2)
	v_fma_f64 v[2:3], v[2:3], s[14:15], v[22:23]
	v_fma_f64 v[48:49], v[48:49], s[14:15], v[72:73]
	;; [unrolled: 1-line block ×3, first 2 shown]
	s_delay_alu instid0(VALU_DEP_1) | instskip(SKIP_1) | instid1(VALU_DEP_2)
	v_fma_f64 v[72:73], v[36:37], s[2:3], v[72:73]
	v_fma_f64 v[36:37], v[36:37], s[16:17], v[206:207]
	;; [unrolled: 1-line block ×3, first 2 shown]
	v_mul_f64_e32 v[72:73], s[14:15], v[48:49]
	s_delay_alu instid0(VALU_DEP_3) | instskip(SKIP_1) | instid1(VALU_DEP_3)
	v_fma_f64 v[24:25], v[30:31], s[2:3], v[36:37]
	v_fma_f64 v[30:31], v[70:71], s[20:21], v[184:185]
	v_fma_f64 v[160:161], v[54:55], s[16:17], -v[72:73]
	s_delay_alu instid0(VALU_DEP_3)
	v_fma_f64 v[20:21], v[138:139], s[14:15], v[24:25]
	v_mul_f64_e32 v[54:55], s[14:15], v[54:55]
	v_fma_f64 v[24:25], v[98:99], s[16:17], v[188:189]
	v_fma_f64 v[30:31], v[58:59], s[12:13], v[30:31]
	v_add_f64_e32 v[72:73], v[38:39], v[160:161]
	v_add_f64_e64 v[202:203], v[38:39], -v[160:161]
	v_fma_f64 v[38:39], v[40:41], s[20:21], v[208:209]
	v_fma_f64 v[48:49], v[48:49], s[20:21], -v[54:55]
	v_fma_f64 v[24:25], v[86:87], s[2:3], v[24:25]
	v_fma_f64 v[54:55], v[86:87], s[20:21], v[192:193]
	s_delay_alu instid0(VALU_DEP_4) | instskip(NEXT) | instid1(VALU_DEP_4)
	v_fma_f64 v[28:29], v[28:29], s[12:13], v[38:39]
	v_add_f64_e32 v[74:75], v[42:43], v[48:49]
	v_add_f64_e64 v[204:205], v[42:43], -v[48:49]
	v_fma_f64 v[48:49], v[90:91], s[16:17], v[190:191]
	v_fma_f64 v[54:55], v[98:99], s[2:3], v[54:55]
	;; [unrolled: 1-line block ×3, first 2 shown]
	s_delay_alu instid0(VALU_DEP_3) | instskip(NEXT) | instid1(VALU_DEP_2)
	v_fma_f64 v[48:49], v[96:97], s[12:13], v[48:49]
	v_mul_f64_e32 v[22:23], s[18:19], v[26:27]
	s_delay_alu instid0(VALU_DEP_1) | instskip(SKIP_1) | instid1(VALU_DEP_2)
	v_fma_f64 v[22:23], v[20:21], s[2:3], -v[22:23]
	v_mul_f64_e32 v[20:21], s[18:19], v[20:21]
	v_add_f64_e32 v[36:37], v[0:1], v[22:23]
	s_delay_alu instid0(VALU_DEP_2)
	v_fma_f64 v[20:21], v[26:27], s[12:13], -v[20:21]
	v_fma_f64 v[26:27], v[96:97], s[20:21], v[186:187]
	v_add_f64_e64 v[40:41], v[0:1], -v[22:23]
	v_add_f64_e32 v[22:23], v[114:115], v[122:123]
	v_add_f64_e32 v[0:1], v[80:81], v[92:93]
	v_fma_f64 v[114:115], v[146:147], s[16:17], v[166:167]
	v_add_f64_e32 v[38:39], v[2:3], v[20:21]
	v_add_f64_e64 v[42:43], v[2:3], -v[20:21]
	v_add_f64_e32 v[20:21], v[106:107], v[120:121]
	v_fma_f64 v[26:27], v[90:91], s[12:13], v[26:27]
	v_add_f64_e32 v[2:3], v[76:77], v[94:95]
	s_delay_alu instid0(VALU_DEP_3) | instskip(NEXT) | instid1(VALU_DEP_3)
	v_fma_f64 v[24:25], v[20:21], s[14:15], v[24:25]
	v_fma_f64 v[26:27], v[22:23], s[14:15], v[26:27]
	s_delay_alu instid0(VALU_DEP_3) | instskip(NEXT) | instid1(VALU_DEP_3)
	v_fma_f64 v[30:31], v[2:3], s[14:15], v[30:31]
	v_mul_f64_e32 v[28:29], s[18:19], v[24:25]
	v_mul_f64_e32 v[24:25], s[12:13], v[24:25]
	s_delay_alu instid0(VALU_DEP_2) | instskip(NEXT) | instid1(VALU_DEP_2)
	v_fma_f64 v[28:29], v[26:27], s[2:3], v[28:29]
	v_fma_f64 v[24:25], v[26:27], s[18:19], v[24:25]
	;; [unrolled: 1-line block ×3, first 2 shown]
	s_delay_alu instid0(VALU_DEP_2) | instskip(NEXT) | instid1(VALU_DEP_2)
	v_add_f64_e32 v[94:95], v[30:31], v[24:25]
	v_fma_f64 v[26:27], v[56:57], s[2:3], v[26:27]
	v_add_f64_e64 v[122:123], v[30:31], -v[24:25]
	scratch_load_b64 v[24:25], off, off offset:24 th:TH_LOAD_LU ; 8-byte Folded Reload
	v_add_f64_e32 v[30:31], v[104:105], v[112:113]
	v_fma_f64 v[26:27], v[0:1], s[14:15], v[26:27]
	s_delay_alu instid0(VALU_DEP_2) | instskip(NEXT) | instid1(VALU_DEP_2)
	v_fma_f64 v[48:49], v[30:31], s[14:15], v[48:49]
	v_add_f64_e32 v[92:93], v[26:27], v[28:29]
	v_add_f64_e64 v[120:121], v[26:27], -v[28:29]
	scratch_load_b64 v[26:27], off, off offset:528 th:TH_LOAD_LU ; 8-byte Folded Reload
	v_add_f64_e32 v[28:29], v[100:101], v[110:111]
	v_mul_f64_e32 v[76:77], s[16:17], v[48:49]
	ds_store_b128 v130, v[44:47] offset:16
	ds_store_b128 v130, v[60:63] offset:32
	;; [unrolled: 1-line block ×8, first 2 shown]
                                        ; implicit-def: $vgpr60_vgpr61
	v_fma_f64 v[54:55], v[28:29], s[14:15], v[54:55]
	s_delay_alu instid0(VALU_DEP_1) | instskip(SKIP_2) | instid1(VALU_DEP_2)
	v_fma_f64 v[80:81], v[54:55], s[14:15], v[76:77]
	v_fma_f64 v[76:77], v[58:59], s[16:17], v[194:195]
	v_mul_f64_e32 v[54:55], s[20:21], v[54:55]
	v_fma_f64 v[76:77], v[70:71], s[12:13], v[76:77]
	s_delay_alu instid0(VALU_DEP_2) | instskip(SKIP_1) | instid1(VALU_DEP_1)
	v_fma_f64 v[48:49], v[48:49], s[14:15], v[54:55]
	v_fma_f64 v[54:55], v[56:57], s[20:21], v[196:197]
	;; [unrolled: 1-line block ×3, first 2 shown]
	s_wait_loadcnt 0x1
	v_add_f64_e32 v[24:25], v[24:25], v[82:83]
	s_delay_alu instid0(VALU_DEP_1) | instskip(SKIP_2) | instid1(VALU_DEP_1)
	v_fma_f64 v[54:55], v[24:25], s[14:15], v[54:55]
	s_wait_loadcnt 0x0
	v_add_f64_e32 v[26:27], v[26:27], v[78:79]
	v_fma_f64 v[82:83], v[26:27], s[14:15], v[76:77]
	s_delay_alu instid0(VALU_DEP_3) | instskip(SKIP_1) | instid1(VALU_DEP_3)
	v_add_f64_e32 v[76:77], v[54:55], v[80:81]
	v_add_f64_e64 v[80:81], v[54:55], -v[80:81]
	v_add_f64_e32 v[78:79], v[82:83], v[48:49]
	v_add_f64_e64 v[82:83], v[82:83], -v[48:49]
	v_fma_f64 v[48:49], v[56:57], s[16:17], v[196:197]
	s_delay_alu instid0(VALU_DEP_1) | instskip(NEXT) | instid1(VALU_DEP_1)
	v_fma_f64 v[48:49], v[68:69], s[12:13], v[48:49]
	v_fma_f64 v[24:25], v[24:25], s[14:15], v[48:49]
	v_fma_f64 v[48:49], v[58:59], s[20:21], v[194:195]
	s_delay_alu instid0(VALU_DEP_1) | instskip(NEXT) | instid1(VALU_DEP_1)
	v_fma_f64 v[48:49], v[70:71], s[2:3], v[48:49]
	v_fma_f64 v[26:27], v[26:27], s[14:15], v[48:49]
	;; [unrolled: 4-line block ×4, first 2 shown]
	s_delay_alu instid0(VALU_DEP_4) | instskip(NEXT) | instid1(VALU_DEP_1)
	v_mul_f64_e32 v[48:49], s[14:15], v[28:29]
	v_fma_f64 v[48:49], v[30:31], s[16:17], -v[48:49]
	v_mul_f64_e32 v[30:31], s[14:15], v[30:31]
	s_delay_alu instid0(VALU_DEP_2) | instskip(SKIP_2) | instid1(VALU_DEP_4)
	v_add_f64_e32 v[104:105], v[24:25], v[48:49]
	v_add_f64_e64 v[110:111], v[24:25], -v[48:49]
	v_fma_f64 v[24:25], v[98:99], s[20:21], v[188:189]
	v_fma_f64 v[28:29], v[28:29], s[20:21], -v[30:31]
	v_fma_f64 v[30:31], v[96:97], s[16:17], v[186:187]
	v_add_f64_e32 v[48:49], v[88:89], v[156:157]
	v_mov_b32_e32 v156, 0
	v_fma_f64 v[24:25], v[86:87], s[12:13], v[24:25]
	v_add_f64_e32 v[106:107], v[26:27], v[28:29]
	v_fma_f64 v[30:31], v[90:91], s[2:3], v[30:31]
	v_add_f64_e64 v[112:113], v[26:27], -v[28:29]
	v_fma_f64 v[28:29], v[70:71], s[16:17], v[184:185]
	v_fma_f64 v[26:27], v[68:69], s[20:21], v[182:183]
	;; [unrolled: 1-line block ×4, first 2 shown]
	v_add_f64_e32 v[30:31], v[126:127], v[136:137]
	v_fma_f64 v[28:29], v[58:59], s[2:3], v[28:29]
	v_fma_f64 v[26:27], v[56:57], s[12:13], v[26:27]
	v_add_f64_e32 v[58:59], v[152:153], v[158:159]
	v_mul_f64_e32 v[24:25], s[18:19], v[20:21]
	s_delay_alu instid0(VALU_DEP_4) | instskip(NEXT) | instid1(VALU_DEP_4)
	v_fma_f64 v[2:3], v[2:3], s[14:15], v[28:29]
	v_fma_f64 v[0:1], v[0:1], s[14:15], v[26:27]
	;; [unrolled: 1-line block ×3, first 2 shown]
	v_add_f64_e32 v[28:29], v[124:125], v[134:135]
	v_or_b32_e32 v134, 16, v246
	s_delay_alu instid0(VALU_DEP_1) | instskip(NEXT) | instid1(VALU_DEP_1)
	v_mul_u32_u24_e32 v36, 10, v134
	v_add_lshl_u32 v182, v144, v36, 4
	v_fma_f64 v[24:25], v[22:23], s[2:3], -v[24:25]
	v_mul_f64_e32 v[22:23], s[18:19], v[22:23]
	v_fma_f64 v[26:27], v[108:109], s[12:13], v[26:27]
	s_delay_alu instid0(VALU_DEP_3) | instskip(NEXT) | instid1(VALU_DEP_3)
	v_add_f64_e32 v[54:55], v[0:1], v[24:25]
	v_fma_f64 v[20:21], v[20:21], s[12:13], -v[22:23]
	v_fma_f64 v[22:23], v[146:147], s[20:21], v[166:167]
	v_add_f64_e64 v[68:69], v[0:1], -v[24:25]
	v_add_f64_e32 v[0:1], v[84:85], v[142:143]
	s_delay_alu instid0(VALU_DEP_4)
	v_add_f64_e32 v[56:57], v[2:3], v[20:21]
	v_add_f64_e64 v[70:71], v[2:3], -v[20:21]
	v_fma_f64 v[20:21], v[148:149], s[16:17], v[168:169]
	v_add_f64_e32 v[2:3], v[34:35], v[32:33]
	v_add_f64_e32 v[32:33], v[154:155], v[176:177]
	;; [unrolled: 1-line block ×3, first 2 shown]
	v_fma_f64 v[22:23], v[140:141], s[12:13], v[22:23]
	ds_store_b128 v182, v[16:19]
	ds_store_b128 v182, v[92:95] offset:16
	ds_store_b128 v182, v[76:79] offset:32
	ds_store_b128 v182, v[104:107] offset:48
	ds_store_b128 v182, v[54:57] offset:64
	ds_store_b128 v182, v[12:15] offset:80
	ds_store_b128 v182, v[120:123] offset:96
	ds_store_b128 v182, v[80:83] offset:112
	ds_store_b128 v182, v[110:113] offset:128
	ds_store_b128 v182, v[68:71] offset:144
	scratch_store_b32 off, v144, off        ; 4-byte Folded Spill
	v_or_b32_e32 v155, 48, v246
                                        ; implicit-def: $vgpr56_vgpr57
	v_fma_f64 v[20:21], v[132:133], s[2:3], v[20:21]
	v_fma_f64 v[26:27], v[2:3], s[14:15], v[26:27]
	s_delay_alu instid0(VALU_DEP_3) | instskip(SKIP_1) | instid1(VALU_DEP_4)
	v_cmp_gt_u64_e32 vcc_lo, 60, v[155:156]
	v_fma_f64 v[22:23], v[34:35], s[14:15], v[22:23]
	v_fma_f64 v[20:21], v[32:33], s[14:15], v[20:21]
	s_delay_alu instid0(VALU_DEP_1) | instskip(SKIP_1) | instid1(VALU_DEP_2)
	v_mul_f64_e32 v[24:25], s[18:19], v[20:21]
	v_mul_f64_e32 v[20:21], s[12:13], v[20:21]
	v_fma_f64 v[24:25], v[22:23], s[2:3], v[24:25]
	s_delay_alu instid0(VALU_DEP_2) | instskip(SKIP_1) | instid1(VALU_DEP_2)
	v_fma_f64 v[22:23], v[22:23], s[18:19], v[20:21]
	v_fma_f64 v[20:21], v[116:117], s[16:17], v[230:231]
	v_add_f64_e32 v[86:87], v[26:27], v[22:23]
	s_delay_alu instid0(VALU_DEP_2) | instskip(SKIP_2) | instid1(VALU_DEP_3)
	v_fma_f64 v[20:21], v[102:103], s[2:3], v[20:21]
	v_add_f64_e64 v[22:23], v[26:27], -v[22:23]
	v_fma_f64 v[26:27], v[132:133], s[20:21], v[172:173]
	v_fma_f64 v[20:21], v[0:1], s[14:15], v[20:21]
	s_delay_alu instid0(VALU_DEP_2) | instskip(NEXT) | instid1(VALU_DEP_2)
	v_fma_f64 v[26:27], v[148:149], s[2:3], v[26:27]
	v_add_f64_e32 v[84:85], v[20:21], v[24:25]
	v_add_f64_e64 v[20:21], v[20:21], -v[24:25]
	v_fma_f64 v[24:25], v[140:141], s[16:17], v[170:171]
	s_delay_alu instid0(VALU_DEP_4) | instskip(NEXT) | instid1(VALU_DEP_2)
	v_fma_f64 v[26:27], v[48:49], s[14:15], v[26:27]
	v_fma_f64 v[24:25], v[146:147], s[12:13], v[24:25]
	s_delay_alu instid0(VALU_DEP_1) | instskip(NEXT) | instid1(VALU_DEP_1)
	v_fma_f64 v[24:25], v[58:59], s[14:15], v[24:25]
	v_mul_f64_e32 v[88:89], s[16:17], v[24:25]
	s_delay_alu instid0(VALU_DEP_1) | instskip(SKIP_2) | instid1(VALU_DEP_2)
	v_fma_f64 v[96:97], v[26:27], s[14:15], v[88:89]
	v_mul_f64_e32 v[26:27], s[20:21], v[26:27]
	v_fma_f64 v[88:89], v[108:109], s[16:17], v[174:175]
	v_fma_f64 v[26:27], v[24:25], s[14:15], v[26:27]
	;; [unrolled: 1-line block ×3, first 2 shown]
	s_delay_alu instid0(VALU_DEP_3) | instskip(NEXT) | instid1(VALU_DEP_2)
	v_fma_f64 v[88:89], v[118:119], s[12:13], v[88:89]
	v_fma_f64 v[24:25], v[116:117], s[2:3], v[24:25]
	s_delay_alu instid0(VALU_DEP_2) | instskip(NEXT) | instid1(VALU_DEP_2)
	v_fma_f64 v[98:99], v[30:31], s[14:15], v[88:89]
	v_fma_f64 v[24:25], v[28:29], s[14:15], v[24:25]
	s_delay_alu instid0(VALU_DEP_2) | instskip(SKIP_1) | instid1(VALU_DEP_3)
	v_add_f64_e32 v[90:91], v[98:99], v[26:27]
	v_add_f64_e64 v[26:27], v[98:99], -v[26:27]
	v_add_f64_e32 v[88:89], v[24:25], v[96:97]
	v_add_f64_e64 v[24:25], v[24:25], -v[96:97]
	v_fma_f64 v[96:97], v[102:103], s[16:17], v[178:179]
	s_delay_alu instid0(VALU_DEP_1) | instskip(NEXT) | instid1(VALU_DEP_1)
	v_fma_f64 v[96:97], v[116:117], s[12:13], v[96:97]
	v_fma_f64 v[28:29], v[28:29], s[14:15], v[96:97]
	v_fma_f64 v[96:97], v[108:109], s[20:21], v[174:175]
	s_delay_alu instid0(VALU_DEP_1) | instskip(NEXT) | instid1(VALU_DEP_1)
	v_fma_f64 v[96:97], v[118:119], s[2:3], v[96:97]
	v_fma_f64 v[30:31], v[30:31], s[14:15], v[96:97]
	;; [unrolled: 4-line block ×4, first 2 shown]
	s_delay_alu instid0(VALU_DEP_4) | instskip(NEXT) | instid1(VALU_DEP_1)
	v_mul_f64_e32 v[96:97], s[14:15], v[48:49]
	v_fma_f64 v[100:101], v[58:59], s[16:17], -v[96:97]
	v_mul_f64_e32 v[58:59], s[14:15], v[58:59]
	s_delay_alu instid0(VALU_DEP_2) | instskip(NEXT) | instid1(VALU_DEP_2)
	v_add_f64_e32 v[96:97], v[28:29], v[100:101]
	v_fma_f64 v[48:49], v[48:49], s[20:21], -v[58:59]
	v_add_f64_e64 v[28:29], v[28:29], -v[100:101]
	v_fma_f64 v[58:59], v[116:117], s[20:21], v[230:231]
	v_fma_f64 v[100:101], v[118:119], s[16:17], v[218:219]
	s_delay_alu instid0(VALU_DEP_4)
	v_add_f64_e32 v[98:99], v[30:31], v[48:49]
	v_add_f64_e64 v[30:31], v[30:31], -v[48:49]
	v_fma_f64 v[48:49], v[148:149], s[20:21], v[168:169]
	v_fma_f64 v[58:59], v[102:103], s[12:13], v[58:59]
	;; [unrolled: 1-line block ×4, first 2 shown]
	s_delay_alu instid0(VALU_DEP_4) | instskip(SKIP_1) | instid1(VALU_DEP_1)
	v_fma_f64 v[48:49], v[132:133], s[12:13], v[48:49]
	v_or_b32_e32 v133, 32, v246
	v_mul_u32_u24_e32 v12, 10, v133
	s_delay_alu instid0(VALU_DEP_1)
	v_add_lshl_u32 v181, v144, v12, 4
	ds_store_b128 v181, v[8:11]
	ds_store_b128 v181, v[84:87] offset:16
	ds_store_b128 v181, v[88:91] offset:32
	;; [unrolled: 1-line block ×3, first 2 shown]
	v_fma_f64 v[32:33], v[32:33], s[14:15], v[48:49]
	v_fma_f64 v[48:49], v[0:1], s[14:15], v[58:59]
	;; [unrolled: 1-line block ×4, first 2 shown]
	s_delay_alu instid0(VALU_DEP_4) | instskip(NEXT) | instid1(VALU_DEP_1)
	v_mul_f64_e32 v[2:3], s[18:19], v[32:33]
	v_fma_f64 v[34:35], v[0:1], s[2:3], -v[2:3]
	v_mul_f64_e32 v[0:1], s[18:19], v[0:1]
	s_load_b64 s[2:3], s[0:1], 0x38
	v_add_co_u32 v8, s0, s8, v215
	s_wait_alu 0xf1ff
	v_add_co_ci_u32_e64 v9, null, s9, 0, s0
	scratch_store_b64 off, v[8:9], off offset:952 ; 8-byte Folded Spill
	v_fma_f64 v[100:101], v[32:33], s[12:13], -v[0:1]
	v_add_f64_e32 v[0:1], v[48:49], v[34:35]
	v_add_f64_e64 v[32:33], v[48:49], -v[34:35]
	s_delay_alu instid0(VALU_DEP_3)
	v_add_f64_e32 v[2:3], v[58:59], v[100:101]
	v_add_f64_e64 v[34:35], v[58:59], -v[100:101]
	ds_store_b128 v181, v[0:3] offset:64
	ds_store_b128 v181, v[4:7] offset:80
	;; [unrolled: 1-line block ×6, first 2 shown]
	global_wb scope:SCOPE_SE
	s_wait_storecnt_dscnt 0x0
	s_wait_kmcnt 0x0
	s_barrier_signal -1
	s_barrier_wait -1
	global_inv scope:SCOPE_SE
	ds_load_b128 v[16:19], v145
	ds_load_b128 v[12:15], v214 offset:256
	ds_load_b128 v[116:119], v214 offset:1920
	;; [unrolled: 1-line block ×23, first 2 shown]
	s_and_saveexec_b32 s0, vcc_lo
	s_cbranch_execz .LBB0_3
; %bb.2:
	ds_load_b128 v[0:3], v214 offset:768
	ds_load_b128 v[4:7], v214 offset:1728
	;; [unrolled: 1-line block ×8, first 2 shown]
.LBB0_3:
	s_wait_alu 0xfffe
	s_or_b32 exec_lo, exec_lo, s0
	v_cmp_gt_u32_e64 s0, 10, v246
	v_add_nc_u32_e32 v128, -10, v246
	s_mov_b32 s12, 0x667f3bcd
	s_mov_b32 s13, 0xbfe6a09e
	;; [unrolled: 1-line block ×3, first 2 shown]
	s_wait_alu 0xfffe
	s_mov_b32 s14, s12
	v_cndmask_b32_e64 v129, v128, v246, s0
	s_delay_alu instid0(VALU_DEP_1) | instskip(SKIP_1) | instid1(VALU_DEP_2)
	v_mul_i32_i24_e32 v128, 0x70, v129
	v_mul_hi_i32_i24_e32 v131, 0x70, v129
	v_add_co_u32 v135, s0, s10, v128
	s_wait_alu 0xf1ff
	s_delay_alu instid0(VALU_DEP_2)
	v_add_co_ci_u32_e64 v136, s0, s11, v131, s0
	v_cmp_lt_u32_e64 s0, 9, v246
	s_clause 0x1
	global_load_b128 v[137:140], v[135:136], off
	global_load_b128 v[143:146], v[135:136], off offset:64
	s_wait_loadcnt_dscnt 0x10f
	v_mul_f64_e32 v[131:132], v[126:127], v[139:140]
	scratch_store_b128 off, v[137:140], off offset:536 ; 16-byte Folded Spill
	s_wait_loadcnt 0x0
	scratch_store_b128 off, v[143:146], off offset:584 ; 16-byte Folded Spill
	v_fma_f64 v[131:132], v[124:125], v[137:138], -v[131:132]
	v_mul_f64_e32 v[124:125], v[124:125], v[139:140]
	s_delay_alu instid0(VALU_DEP_1)
	v_fma_f64 v[124:125], v[126:127], v[137:138], v[124:125]
	global_load_b128 v[137:140], v[135:136], off offset:16
	s_wait_loadcnt 0x0
	v_mul_f64_e32 v[126:127], v[118:119], v[139:140]
	scratch_store_b128 off, v[137:140], off offset:600 ; 16-byte Folded Spill
	v_fma_f64 v[126:127], v[116:117], v[137:138], -v[126:127]
	v_mul_f64_e32 v[116:117], v[116:117], v[139:140]
	s_delay_alu instid0(VALU_DEP_1)
	v_fma_f64 v[116:117], v[118:119], v[137:138], v[116:117]
	global_load_b128 v[137:140], v[135:136], off offset:32
	s_wait_loadcnt_dscnt 0xb
	v_mul_f64_e32 v[118:119], v[122:123], v[139:140]
	scratch_store_b128 off, v[137:140], off offset:552 ; 16-byte Folded Spill
	v_fma_f64 v[118:119], v[120:121], v[137:138], -v[118:119]
	v_mul_f64_e32 v[120:121], v[120:121], v[139:140]
	global_load_b128 v[139:142], v[135:136], off offset:48
	v_fma_f64 v[120:121], v[122:123], v[137:138], v[120:121]
	s_wait_loadcnt 0x0
	v_mul_f64_e32 v[122:123], v[110:111], v[141:142]
	scratch_store_b128 off, v[139:142], off offset:568 ; 16-byte Folded Spill
	v_fma_f64 v[137:138], v[108:109], v[139:140], -v[122:123]
	v_mul_f64_e32 v[108:109], v[108:109], v[141:142]
	s_wait_alu 0xf1ff
	v_cndmask_b32_e64 v123, 0, 0x50, s0
	s_delay_alu instid0(VALU_DEP_1) | instskip(SKIP_4) | instid1(VALU_DEP_1)
	v_or_b32_e32 v123, v129, v123
	scratch_load_b32 v129, off, off         ; 4-byte Folded Reload
	v_fma_f64 v[139:140], v[110:111], v[139:140], v[108:109]
	s_wait_dscnt 0x7
	v_mul_f64_e32 v[108:109], v[114:115], v[145:146]
	v_fma_f64 v[141:142], v[112:113], v[143:144], -v[108:109]
	v_mul_f64_e32 v[108:109], v[112:113], v[145:146]
	global_load_b128 v[110:113], v[135:136], off offset:80
	v_fma_f64 v[143:144], v[114:115], v[143:144], v[108:109]
	s_wait_loadcnt 0x1
	v_add_lshl_u32 v165, v129, v123, 4
	s_wait_loadcnt 0x0
	v_mul_f64_e32 v[108:109], v[102:103], v[112:113]
	scratch_store_b128 off, v[110:113], off offset:616 ; 16-byte Folded Spill
	v_fma_f64 v[145:146], v[100:101], v[110:111], -v[108:109]
	v_mul_f64_e32 v[100:101], v[100:101], v[112:113]
	s_delay_alu instid0(VALU_DEP_1) | instskip(SKIP_3) | instid1(VALU_DEP_1)
	v_fma_f64 v[147:148], v[102:103], v[110:111], v[100:101]
	global_load_b128 v[108:111], v[135:136], off offset:96
	s_wait_loadcnt_dscnt 0x3
	v_mul_f64_e32 v[100:101], v[106:107], v[110:111]
	v_fma_f64 v[135:136], v[104:105], v[108:109], -v[100:101]
	v_mul_f64_e32 v[100:101], v[104:105], v[110:111]
	s_delay_alu instid0(VALU_DEP_2) | instskip(NEXT) | instid1(VALU_DEP_2)
	v_add_f64_e64 v[135:136], v[118:119], -v[135:136]
	v_fma_f64 v[149:150], v[106:107], v[108:109], v[100:101]
	v_mul_lo_u16 v100, v134, 26
	s_delay_alu instid0(VALU_DEP_1) | instskip(NEXT) | instid1(VALU_DEP_1)
	v_lshrrev_b16 v112, 8, v100
	v_mul_lo_u16 v100, v112, 10
	s_delay_alu instid0(VALU_DEP_1) | instskip(NEXT) | instid1(VALU_DEP_1)
	v_sub_nc_u16 v113, v134, v100
	v_and_b32_e32 v100, 0xff, v113
	s_delay_alu instid0(VALU_DEP_1)
	v_mad_co_u64_u32 v[102:103], null, 0x70, v100, s[10:11]
	global_load_b128 v[104:107], v[102:103], off
	scratch_store_b128 off, v[108:111], off offset:632 ; 16-byte Folded Spill
	v_fma_f64 v[118:119], v[118:119], 2.0, -v[135:136]
	s_wait_loadcnt 0x0
	scratch_store_b128 off, v[104:107], off offset:648 ; 16-byte Folded Spill
	v_mul_f64_e32 v[100:101], v[98:99], v[106:107]
	s_delay_alu instid0(VALU_DEP_1) | instskip(SKIP_1) | instid1(VALU_DEP_1)
	v_fma_f64 v[100:101], v[96:97], v[104:105], -v[100:101]
	v_mul_f64_e32 v[96:97], v[96:97], v[106:107]
	v_fma_f64 v[96:97], v[98:99], v[104:105], v[96:97]
	global_load_b128 v[104:107], v[102:103], off offset:16
	s_wait_loadcnt 0x0
	v_mul_f64_e32 v[98:99], v[90:91], v[106:107]
	scratch_store_b128 off, v[104:107], off offset:664 ; 16-byte Folded Spill
	v_fma_f64 v[98:99], v[88:89], v[104:105], -v[98:99]
	v_mul_f64_e32 v[88:89], v[88:89], v[106:107]
	s_delay_alu instid0(VALU_DEP_1)
	v_fma_f64 v[88:89], v[90:91], v[104:105], v[88:89]
	global_load_b128 v[104:107], v[102:103], off offset:32
	s_wait_loadcnt 0x0
	v_mul_f64_e32 v[90:91], v[94:95], v[106:107]
	scratch_store_b128 off, v[104:107], off offset:680 ; 16-byte Folded Spill
	v_fma_f64 v[90:91], v[92:93], v[104:105], -v[90:91]
	v_mul_f64_e32 v[92:93], v[92:93], v[106:107]
	s_delay_alu instid0(VALU_DEP_1)
	v_fma_f64 v[92:93], v[94:95], v[104:105], v[92:93]
	global_load_b128 v[104:107], v[102:103], off offset:48
	s_wait_loadcnt 0x0
	v_mul_f64_e32 v[94:95], v[82:83], v[106:107]
	scratch_store_b128 off, v[104:107], off offset:712 ; 16-byte Folded Spill
	v_fma_f64 v[94:95], v[80:81], v[104:105], -v[94:95]
	v_mul_f64_e32 v[80:81], v[80:81], v[106:107]
	s_delay_alu instid0(VALU_DEP_1)
	v_fma_f64 v[80:81], v[82:83], v[104:105], v[80:81]
	global_load_b128 v[104:107], v[102:103], off offset:64
	s_wait_loadcnt 0x0
	v_mul_f64_e32 v[82:83], v[86:87], v[106:107]
	scratch_store_b128 off, v[104:107], off offset:696 ; 16-byte Folded Spill
	v_fma_f64 v[82:83], v[84:85], v[104:105], -v[82:83]
	v_mul_f64_e32 v[84:85], v[84:85], v[106:107]
	s_delay_alu instid0(VALU_DEP_2) | instskip(NEXT) | instid1(VALU_DEP_2)
	v_add_f64_e64 v[82:83], v[100:101], -v[82:83]
	v_fma_f64 v[84:85], v[86:87], v[104:105], v[84:85]
	global_load_b128 v[104:107], v[102:103], off offset:80
	v_add_f64_e64 v[84:85], v[96:97], -v[84:85]
	s_wait_loadcnt 0x0
	v_mul_f64_e32 v[86:87], v[74:75], v[106:107]
	scratch_store_b128 off, v[104:107], off offset:744 ; 16-byte Folded Spill
	v_fma_f64 v[86:87], v[72:73], v[104:105], -v[86:87]
	v_mul_f64_e32 v[72:73], v[72:73], v[106:107]
	s_delay_alu instid0(VALU_DEP_2) | instskip(NEXT) | instid1(VALU_DEP_2)
	v_add_f64_e64 v[86:87], v[98:99], -v[86:87]
	v_fma_f64 v[74:75], v[74:75], v[104:105], v[72:73]
	global_load_b128 v[104:107], v[102:103], off offset:96
	s_wait_loadcnt_dscnt 0x1
	v_mul_f64_e32 v[72:73], v[78:79], v[106:107]
	scratch_store_b128 off, v[104:107], off offset:728 ; 16-byte Folded Spill
	v_fma_f64 v[102:103], v[76:77], v[104:105], -v[72:73]
	v_mul_f64_e32 v[72:73], v[76:77], v[106:107]
	s_delay_alu instid0(VALU_DEP_2) | instskip(NEXT) | instid1(VALU_DEP_2)
	v_add_f64_e64 v[102:103], v[90:91], -v[102:103]
	v_fma_f64 v[76:77], v[78:79], v[104:105], v[72:73]
	v_mul_lo_u16 v72, v133, 26
	s_delay_alu instid0(VALU_DEP_1) | instskip(NEXT) | instid1(VALU_DEP_1)
	v_lshrrev_b16 v114, 8, v72
	v_mul_lo_u16 v72, v114, 10
	s_delay_alu instid0(VALU_DEP_1) | instskip(SKIP_1) | instid1(VALU_DEP_2)
	v_sub_nc_u16 v72, v133, v72
	v_add_f64_e64 v[133:134], v[126:127], -v[145:146]
	v_and_b32_e32 v115, 0xff, v72
	s_delay_alu instid0(VALU_DEP_1)
	v_mad_co_u64_u32 v[108:109], null, 0x70, v115, s[10:11]
	s_clause 0x1
	global_load_b128 v[104:107], v[108:109], off
	global_load_b128 v[151:154], v[108:109], off offset:80
	v_fma_f64 v[126:127], v[126:127], 2.0, -v[133:134]
	s_wait_loadcnt 0x1
	v_mul_f64_e32 v[72:73], v[70:71], v[106:107]
	scratch_store_b128 off, v[104:107], off offset:760 ; 16-byte Folded Spill
	s_wait_loadcnt 0x0
	scratch_store_b128 off, v[151:154], off offset:856 ; 16-byte Folded Spill
	v_fma_f64 v[72:73], v[68:69], v[104:105], -v[72:73]
	v_mul_f64_e32 v[68:69], v[68:69], v[106:107]
	s_delay_alu instid0(VALU_DEP_1)
	v_fma_f64 v[68:69], v[70:71], v[104:105], v[68:69]
	global_load_b128 v[104:107], v[108:109], off offset:16
	s_wait_loadcnt 0x0
	v_mul_f64_e32 v[70:71], v[66:67], v[106:107]
	scratch_store_b128 off, v[104:107], off offset:792 ; 16-byte Folded Spill
	v_fma_f64 v[70:71], v[64:65], v[104:105], -v[70:71]
	v_mul_f64_e32 v[64:65], v[64:65], v[106:107]
	s_delay_alu instid0(VALU_DEP_1)
	v_fma_f64 v[64:65], v[66:67], v[104:105], v[64:65]
	global_load_b128 v[104:107], v[108:109], off offset:32
	s_wait_loadcnt 0x0
	v_mul_f64_e32 v[66:67], v[54:55], v[106:107]
	;; [unrolled: 8-line block ×3, first 2 shown]
	scratch_store_b128 off, v[104:107], off offset:824 ; 16-byte Folded Spill
	v_fma_f64 v[54:55], v[48:49], v[104:105], -v[54:55]
	v_mul_f64_e32 v[48:49], v[48:49], v[106:107]
	s_delay_alu instid0(VALU_DEP_2) | instskip(NEXT) | instid1(VALU_DEP_2)
	v_add_f64_e64 v[54:55], v[8:9], -v[54:55]
	v_fma_f64 v[50:51], v[50:51], v[104:105], v[48:49]
	global_load_b128 v[104:107], v[108:109], off offset:64
	v_add_f64_e64 v[50:51], v[10:11], -v[50:51]
	s_wait_loadcnt 0x0
	v_mul_f64_e32 v[48:49], v[46:47], v[106:107]
	scratch_store_b128 off, v[104:107], off offset:808 ; 16-byte Folded Spill
	v_fma_f64 v[48:49], v[44:45], v[104:105], -v[48:49]
	v_mul_f64_e32 v[44:45], v[44:45], v[106:107]
	s_delay_alu instid0(VALU_DEP_1) | instskip(SKIP_1) | instid1(VALU_DEP_2)
	v_fma_f64 v[78:79], v[46:47], v[104:105], v[44:45]
	v_mul_f64_e32 v[44:45], v[42:43], v[153:154]
	v_add_f64_e64 v[78:79], v[68:69], -v[78:79]
	s_delay_alu instid0(VALU_DEP_2) | instskip(SKIP_1) | instid1(VALU_DEP_2)
	v_fma_f64 v[104:105], v[40:41], v[151:152], -v[44:45]
	v_mul_f64_e32 v[40:41], v[40:41], v[153:154]
	v_add_f64_e64 v[104:105], v[70:71], -v[104:105]
	s_delay_alu instid0(VALU_DEP_2) | instskip(SKIP_3) | instid1(VALU_DEP_2)
	v_fma_f64 v[106:107], v[42:43], v[151:152], v[40:41]
	global_load_b128 v[42:45], v[108:109], off offset:96
	v_add_f64_e32 v[159:160], v[50:51], v[104:105]
	v_add_f64_e64 v[106:107], v[64:65], -v[106:107]
	v_fma_f64 v[163:164], v[50:51], 2.0, -v[159:160]
	s_delay_alu instid0(VALU_DEP_2) | instskip(NEXT) | instid1(VALU_DEP_1)
	v_add_f64_e64 v[157:158], v[54:55], -v[106:107]
	v_fma_f64 v[161:162], v[54:55], 2.0, -v[157:158]
	s_wait_loadcnt_dscnt 0x0
	v_mul_f64_e32 v[40:41], v[38:39], v[44:45]
	s_delay_alu instid0(VALU_DEP_1) | instskip(SKIP_1) | instid1(VALU_DEP_2)
	v_fma_f64 v[108:109], v[36:37], v[42:43], -v[40:41]
	v_mul_f64_e32 v[36:37], v[36:37], v[44:45]
	v_add_f64_e64 v[108:109], v[66:67], -v[108:109]
	s_delay_alu instid0(VALU_DEP_2) | instskip(SKIP_1) | instid1(VALU_DEP_1)
	v_fma_f64 v[110:111], v[38:39], v[42:43], v[36:37]
	v_mul_lo_u16 v36, v155, 26
	v_lshrrev_b16 v122, 8, v36
	s_delay_alu instid0(VALU_DEP_1) | instskip(NEXT) | instid1(VALU_DEP_1)
	v_mul_lo_u16 v36, v122, 10
	v_sub_nc_u16 v36, v155, v36
	v_add_f64_e64 v[155:156], v[72:73], -v[48:49]
	s_delay_alu instid0(VALU_DEP_2)
	v_and_b32_e32 v36, 0xff, v36
	s_clause 0x1
	scratch_store_b128 off, v[42:45], off offset:840
	scratch_store_b32 off, v36, off offset:528
	v_mad_co_u64_u32 v[44:45], null, 0x70, v36, s[10:11]
	s_clause 0x1
	global_load_b128 v[38:41], v[44:45], off
	global_load_b128 v[151:154], v[44:45], off offset:16
	v_add_f64_e64 v[110:111], v[52:53], -v[110:111]
	s_delay_alu instid0(VALU_DEP_1)
	v_add_f64_e64 v[48:49], v[155:156], -v[110:111]
	s_wait_loadcnt 0x1
	v_mul_f64_e32 v[36:37], v[6:7], v[40:41]
	scratch_store_b128 off, v[38:41], off offset:960 ; 16-byte Folded Spill
	s_wait_loadcnt 0x0
	scratch_store_b128 off, v[151:154], off offset:976 ; 16-byte Folded Spill
	v_fma_f64 v[36:37], v[4:5], v[38:39], -v[36:37]
	v_mul_f64_e32 v[4:5], v[4:5], v[40:41]
	s_delay_alu instid0(VALU_DEP_1)
	v_fma_f64 v[38:39], v[6:7], v[38:39], v[4:5]
	v_mul_f64_e32 v[4:5], v[22:23], v[153:154]
	v_add_f64_e64 v[6:7], v[18:19], -v[139:140]
	v_add_f64_e64 v[139:140], v[131:132], -v[141:142]
	;; [unrolled: 1-line block ×4, first 2 shown]
	v_fma_f64 v[40:41], v[20:21], v[151:152], -v[4:5]
	v_mul_f64_e32 v[4:5], v[20:21], v[153:154]
	v_fma_f64 v[18:19], v[18:19], 2.0, -v[6:7]
	v_fma_f64 v[131:132], v[131:132], 2.0, -v[139:140]
	v_add_f64_e64 v[149:150], v[139:140], -v[143:144]
	v_fma_f64 v[120:121], v[120:121], 2.0, -v[143:144]
	v_fma_f64 v[20:21], v[22:23], v[151:152], v[4:5]
	global_load_b128 v[151:154], v[44:45], off offset:32
	s_wait_loadcnt 0x0
	v_mul_f64_e32 v[4:5], v[26:27], v[153:154]
	scratch_store_b128 off, v[151:154], off offset:992 ; 16-byte Folded Spill
	v_fma_f64 v[42:43], v[24:25], v[151:152], -v[4:5]
	v_mul_f64_e32 v[4:5], v[24:25], v[153:154]
	s_delay_alu instid0(VALU_DEP_1)
	v_fma_f64 v[22:23], v[26:27], v[151:152], v[4:5]
	global_load_b128 v[151:154], v[44:45], off offset:48
	s_wait_loadcnt 0x0
	v_mul_f64_e32 v[4:5], v[30:31], v[153:154]
	scratch_store_b128 off, v[151:154], off offset:1008 ; 16-byte Folded Spill
	v_fma_f64 v[24:25], v[28:29], v[151:152], -v[4:5]
	v_mul_f64_e32 v[4:5], v[28:29], v[153:154]
	s_delay_alu instid0(VALU_DEP_1)
	v_fma_f64 v[26:27], v[30:31], v[151:152], v[4:5]
	global_load_b128 v[151:154], v[44:45], off offset:64
	s_wait_loadcnt 0x0
	v_mul_f64_e32 v[4:5], v[34:35], v[153:154]
	scratch_store_b128 off, v[151:154], off offset:1024 ; 16-byte Folded Spill
	v_fma_f64 v[28:29], v[32:33], v[151:152], -v[4:5]
	v_mul_f64_e32 v[4:5], v[32:33], v[153:154]
	s_delay_alu instid0(VALU_DEP_1) | instskip(SKIP_3) | instid1(VALU_DEP_1)
	v_fma_f64 v[30:31], v[34:35], v[151:152], v[4:5]
	global_load_b128 v[151:154], v[44:45], off offset:80
	s_wait_loadcnt 0x0
	v_mul_f64_e32 v[4:5], v[58:59], v[153:154]
	v_fma_f64 v[32:33], v[56:57], v[151:152], -v[4:5]
	v_mul_f64_e32 v[4:5], v[56:57], v[153:154]
	s_delay_alu instid0(VALU_DEP_1)
	v_fma_f64 v[34:35], v[58:59], v[151:152], v[4:5]
	global_load_b128 v[56:59], v[44:45], off offset:96
	scratch_store_b128 off, v[151:154], off offset:1040 ; 16-byte Folded Spill
	v_add_f64_e32 v[151:152], v[141:142], v[135:136]
	v_fma_f64 v[153:154], v[10:11], 2.0, -v[50:51]
	v_fma_f64 v[50:51], v[155:156], 2.0, -v[48:49]
	s_wait_loadcnt 0x0
	scratch_store_b128 off, v[56:59], off offset:1056 ; 16-byte Folded Spill
	v_mul_f64_e32 v[4:5], v[62:63], v[58:59]
	global_wb scope:SCOPE_SE
	s_wait_storecnt 0x0
	s_barrier_signal -1
	s_barrier_wait -1
	global_inv scope:SCOPE_SE
	v_fma_f64 v[44:45], v[60:61], v[56:57], -v[4:5]
	v_mul_f64_e32 v[4:5], v[60:61], v[58:59]
	s_delay_alu instid0(VALU_DEP_1) | instskip(SKIP_4) | instid1(VALU_DEP_4)
	v_fma_f64 v[46:47], v[62:63], v[56:57], v[4:5]
	v_add_f64_e64 v[4:5], v[16:17], -v[137:138]
	v_add_f64_e64 v[137:138], v[116:117], -v[147:148]
	v_add_f64_e32 v[147:148], v[6:7], v[133:134]
	v_fma_f64 v[133:134], v[124:125], 2.0, -v[141:142]
	v_fma_f64 v[16:17], v[16:17], 2.0, -v[4:5]
	s_delay_alu instid0(VALU_DEP_4)
	v_add_f64_e64 v[145:146], v[4:5], -v[137:138]
	v_fma_f64 v[116:117], v[116:117], 2.0, -v[137:138]
	s_wait_alu 0xfffe
	v_fma_f64 v[58:59], v[151:152], s[14:15], v[147:148]
	v_add_f64_e64 v[120:121], v[133:134], -v[120:121]
	v_add_f64_e64 v[137:138], v[131:132], -v[118:119]
	;; [unrolled: 1-line block ×3, first 2 shown]
	v_fma_f64 v[56:57], v[149:150], s[14:15], v[145:146]
	v_add_f64_e64 v[135:136], v[18:19], -v[116:117]
	v_fma_f64 v[62:63], v[149:150], s[14:15], v[58:59]
	v_fma_f64 v[58:59], v[6:7], 2.0, -v[147:148]
	v_fma_f64 v[6:7], v[139:140], 2.0, -v[149:150]
	v_add_f64_e64 v[139:140], v[88:89], -v[74:75]
	v_add_f64_e64 v[116:117], v[127:128], -v[120:121]
	v_fma_f64 v[60:61], v[151:152], s[12:13], v[56:57]
	v_add_f64_e32 v[118:119], v[135:136], v[137:138]
	v_fma_f64 v[56:57], v[4:5], 2.0, -v[145:146]
	v_fma_f64 v[4:5], v[141:142], 2.0, -v[151:152]
	v_add_f64_e64 v[141:142], v[92:93], -v[76:77]
	v_add_f64_e32 v[76:77], v[84:85], v[102:103]
	v_fma_f64 v[123:124], v[127:128], 2.0, -v[116:117]
	ds_store_b128 v165, v[60:63] offset:1120
	v_fma_f64 v[125:126], v[135:136], 2.0, -v[118:119]
	ds_store_b128 v165, v[116:119] offset:960
	v_fma_f64 v[116:117], v[145:146], 2.0, -v[60:61]
	v_fma_f64 v[118:119], v[147:148], 2.0, -v[62:63]
	v_add_f64_e64 v[60:61], v[12:13], -v[94:95]
	v_add_f64_e64 v[62:63], v[14:15], -v[80:81]
	v_fma_f64 v[149:150], v[6:7], s[12:13], v[56:57]
	v_add_f64_e64 v[74:75], v[82:83], -v[141:142]
	v_fma_f64 v[151:152], v[4:5], s[12:13], v[58:59]
	ds_store_b128 v165, v[123:126] offset:320
	ds_store_b128 v165, v[116:119] offset:480
	v_add_f64_e64 v[143:144], v[60:61], -v[139:140]
	v_add_f64_e32 v[145:146], v[62:63], v[86:87]
	v_fma_f64 v[4:5], v[4:5], s[12:13], v[149:150]
	v_fma_f64 v[94:95], v[14:15], 2.0, -v[62:63]
	v_fma_f64 v[80:81], v[12:13], 2.0, -v[60:61]
	v_fma_f64 v[6:7], v[6:7], s[14:15], v[151:152]
	v_fma_f64 v[151:152], v[8:9], 2.0, -v[54:55]
	v_fma_f64 v[8:9], v[48:49], s[14:15], v[157:158]
	v_fma_f64 v[54:55], v[50:51], s[12:13], v[161:162]
	v_fma_f64 v[147:148], v[60:61], 2.0, -v[143:144]
	v_fma_f64 v[14:15], v[76:77], s[14:15], v[145:146]
	v_fma_f64 v[149:150], v[62:63], 2.0, -v[145:146]
	v_fma_f64 v[62:63], v[82:83], 2.0, -v[74:75]
	v_fma_f64 v[12:13], v[74:75], s[14:15], v[143:144]
	v_fma_f64 v[60:61], v[84:85], 2.0, -v[76:77]
	v_fma_f64 v[14:15], v[74:75], s[14:15], v[14:15]
	s_delay_alu instid0(VALU_DEP_4) | instskip(NEXT) | instid1(VALU_DEP_4)
	v_fma_f64 v[74:75], v[62:63], s[12:13], v[147:148]
	v_fma_f64 v[12:13], v[76:77], s[12:13], v[12:13]
	s_delay_alu instid0(VALU_DEP_4) | instskip(NEXT) | instid1(VALU_DEP_3)
	v_fma_f64 v[76:77], v[60:61], s[12:13], v[149:150]
	v_fma_f64 v[60:61], v[60:61], s[12:13], v[74:75]
	v_add_f64_e32 v[74:75], v[78:79], v[108:109]
	s_delay_alu instid0(VALU_DEP_3) | instskip(SKIP_2) | instid1(VALU_DEP_4)
	v_fma_f64 v[62:63], v[62:63], s[14:15], v[76:77]
	v_fma_f64 v[76:77], v[18:19], 2.0, -v[135:136]
	v_fma_f64 v[18:19], v[133:134], 2.0, -v[120:121]
	v_fma_f64 v[10:11], v[74:75], s[14:15], v[159:160]
	v_fma_f64 v[8:9], v[74:75], s[12:13], v[8:9]
	s_delay_alu instid0(VALU_DEP_3) | instskip(NEXT) | instid1(VALU_DEP_3)
	v_add_f64_e64 v[18:19], v[76:77], -v[18:19]
	v_fma_f64 v[10:11], v[48:49], s[14:15], v[10:11]
	v_fma_f64 v[48:49], v[78:79], 2.0, -v[74:75]
	s_delay_alu instid0(VALU_DEP_3) | instskip(NEXT) | instid1(VALU_DEP_2)
	v_fma_f64 v[76:77], v[76:77], 2.0, -v[18:19]
	v_fma_f64 v[74:75], v[48:49], s[12:13], v[163:164]
	v_fma_f64 v[48:49], v[48:49], s[12:13], v[54:55]
	v_fma_f64 v[54:55], v[16:17], 2.0, -v[127:128]
	v_fma_f64 v[16:17], v[131:132], 2.0, -v[137:138]
	s_delay_alu instid0(VALU_DEP_4) | instskip(NEXT) | instid1(VALU_DEP_2)
	v_fma_f64 v[50:51], v[50:51], s[14:15], v[74:75]
	v_add_f64_e64 v[16:17], v[54:55], -v[16:17]
	s_delay_alu instid0(VALU_DEP_1)
	v_fma_f64 v[74:75], v[54:55], 2.0, -v[16:17]
	ds_store_b128 v165, v[16:19] offset:640
	v_fma_f64 v[16:17], v[56:57], 2.0, -v[4:5]
	v_fma_f64 v[18:19], v[58:59], 2.0, -v[6:7]
	ds_store_b128 v165, v[4:7] offset:800
	ds_store_b128 v165, v[74:77]
	v_fma_f64 v[4:5], v[98:99], 2.0, -v[86:87]
	v_fma_f64 v[6:7], v[88:89], 2.0, -v[139:140]
	;; [unrolled: 1-line block ×3, first 2 shown]
	ds_store_b128 v165, v[16:19] offset:160
	v_fma_f64 v[56:57], v[96:97], 2.0, -v[84:85]
	v_fma_f64 v[16:17], v[92:93], 2.0, -v[141:142]
	;; [unrolled: 1-line block ×3, first 2 shown]
	v_mul_lo_u16 v58, 0x50, v112
	scratch_store_b32 off, v165, off offset:876 ; 4-byte Folded Spill
	v_or_b32_e32 v84, v58, v113
	s_delay_alu instid0(VALU_DEP_1) | instskip(NEXT) | instid1(VALU_DEP_1)
	v_and_b32_e32 v84, 0xff, v84
	v_add_lshl_u32 v84, v129, v84, 4
	v_add_f64_e64 v[58:59], v[80:81], -v[4:5]
	v_add_f64_e64 v[74:75], v[94:95], -v[6:7]
	;; [unrolled: 1-line block ×4, first 2 shown]
	s_delay_alu instid0(VALU_DEP_2) | instskip(NEXT) | instid1(VALU_DEP_2)
	v_add_f64_e64 v[4:5], v[58:59], -v[76:77]
	v_add_f64_e32 v[6:7], v[74:75], v[82:83]
	s_delay_alu instid0(VALU_DEP_2) | instskip(NEXT) | instid1(VALU_DEP_2)
	v_fma_f64 v[16:17], v[58:59], 2.0, -v[4:5]
	v_fma_f64 v[18:19], v[74:75], 2.0, -v[6:7]
	;; [unrolled: 1-line block ×4, first 2 shown]
	ds_store_b128 v84, v[16:19] offset:320
	v_fma_f64 v[16:17], v[143:144], 2.0, -v[12:13]
	v_fma_f64 v[18:19], v[145:146], 2.0, -v[14:15]
	ds_store_b128 v84, v[16:19] offset:480
	v_fma_f64 v[16:17], v[54:55], 2.0, -v[82:83]
	v_fma_f64 v[18:19], v[56:57], 2.0, -v[76:77]
	s_delay_alu instid0(VALU_DEP_2) | instskip(NEXT) | instid1(VALU_DEP_2)
	v_add_f64_e64 v[16:17], v[58:59], -v[16:17]
	v_add_f64_e64 v[18:19], v[74:75], -v[18:19]
	s_delay_alu instid0(VALU_DEP_2) | instskip(NEXT) | instid1(VALU_DEP_2)
	v_fma_f64 v[54:55], v[58:59], 2.0, -v[16:17]
	v_fma_f64 v[56:57], v[74:75], 2.0, -v[18:19]
	ds_store_b128 v84, v[16:19] offset:640
	v_fma_f64 v[16:17], v[147:148], 2.0, -v[60:61]
	v_fma_f64 v[18:19], v[149:150], 2.0, -v[62:63]
	ds_store_b128 v84, v[60:63] offset:800
	ds_store_b128 v84, v[4:7] offset:960
	;; [unrolled: 1-line block ×3, first 2 shown]
	ds_store_b128 v84, v[54:57]
	v_fma_f64 v[4:5], v[70:71], 2.0, -v[104:105]
	v_fma_f64 v[6:7], v[64:65], 2.0, -v[106:107]
	;; [unrolled: 1-line block ×4, first 2 shown]
	scratch_store_b32 off, v84, off offset:944 ; 4-byte Folded Spill
	ds_store_b128 v84, v[16:19] offset:160
	v_fma_f64 v[16:17], v[66:67], 2.0, -v[108:109]
	v_fma_f64 v[18:19], v[52:53], 2.0, -v[110:111]
	v_add_f64_e64 v[52:53], v[151:152], -v[4:5]
	v_add_f64_e64 v[54:55], v[153:154], -v[6:7]
	s_delay_alu instid0(VALU_DEP_4) | instskip(NEXT) | instid1(VALU_DEP_4)
	v_add_f64_e64 v[16:17], v[12:13], -v[16:17]
	v_add_f64_e64 v[18:19], v[14:15], -v[18:19]
	s_delay_alu instid0(VALU_DEP_4) | instskip(NEXT) | instid1(VALU_DEP_4)
	v_fma_f64 v[56:57], v[151:152], 2.0, -v[52:53]
	v_fma_f64 v[58:59], v[153:154], 2.0, -v[54:55]
	s_delay_alu instid0(VALU_DEP_4) | instskip(NEXT) | instid1(VALU_DEP_4)
	v_fma_f64 v[4:5], v[12:13], 2.0, -v[16:17]
	v_fma_f64 v[6:7], v[14:15], 2.0, -v[18:19]
	s_delay_alu instid0(VALU_DEP_2) | instskip(NEXT) | instid1(VALU_DEP_2)
	v_add_f64_e64 v[4:5], v[56:57], -v[4:5]
	v_add_f64_e64 v[6:7], v[58:59], -v[6:7]
	s_delay_alu instid0(VALU_DEP_2) | instskip(NEXT) | instid1(VALU_DEP_2)
	v_fma_f64 v[12:13], v[56:57], 2.0, -v[4:5]
	v_fma_f64 v[14:15], v[58:59], 2.0, -v[6:7]
	v_and_b32_e32 v56, 0xffff, v114
	s_delay_alu instid0(VALU_DEP_1) | instskip(NEXT) | instid1(VALU_DEP_1)
	v_mul_u32_u24_e32 v56, 0x50, v56
	v_or_b32_e32 v56, v56, v115
	s_delay_alu instid0(VALU_DEP_1)
	v_add_lshl_u32 v56, v129, v56, 4
	ds_store_b128 v56, v[12:15]
	v_fma_f64 v[12:13], v[161:162], 2.0, -v[48:49]
	v_fma_f64 v[14:15], v[163:164], 2.0, -v[50:51]
	ds_store_b128 v56, v[12:15] offset:160
	v_add_f64_e64 v[12:13], v[52:53], -v[18:19]
	v_add_f64_e32 v[14:15], v[54:55], v[16:17]
	s_delay_alu instid0(VALU_DEP_2) | instskip(NEXT) | instid1(VALU_DEP_2)
	v_fma_f64 v[16:17], v[52:53], 2.0, -v[12:13]
	v_fma_f64 v[18:19], v[54:55], 2.0, -v[14:15]
	ds_store_b128 v56, v[16:19] offset:320
	v_fma_f64 v[16:17], v[157:158], 2.0, -v[8:9]
	v_fma_f64 v[18:19], v[159:160], 2.0, -v[10:11]
	ds_store_b128 v56, v[16:19] offset:480
	ds_store_b128 v56, v[4:7] offset:640
	;; [unrolled: 1-line block ×4, first 2 shown]
	v_add_f64_e64 v[18:19], v[2:3], -v[26:27]
	ds_store_b128 v56, v[8:11] offset:1120
	v_add_f64_e64 v[10:11], v[0:1], -v[24:25]
	v_add_f64_e64 v[4:5], v[40:41], -v[32:33]
	;; [unrolled: 1-line block ×6, first 2 shown]
	v_fma_f64 v[6:7], v[2:3], 2.0, -v[18:19]
	v_add_f64_e64 v[2:3], v[20:21], -v[34:35]
	v_fma_f64 v[0:1], v[0:1], 2.0, -v[10:11]
	v_fma_f64 v[16:17], v[40:41], 2.0, -v[4:5]
	v_add_f64_e32 v[4:5], v[18:19], v[4:5]
	v_fma_f64 v[34:35], v[42:43], 2.0, -v[8:9]
	v_add_f64_e64 v[28:29], v[24:25], -v[12:13]
	v_add_f64_e32 v[30:31], v[26:27], v[8:9]
	v_fma_f64 v[22:23], v[22:23], 2.0, -v[12:13]
	v_fma_f64 v[14:15], v[36:37], 2.0, -v[24:25]
	;; [unrolled: 1-line block ×3, first 2 shown]
	v_add_f64_e64 v[2:3], v[10:11], -v[2:3]
	v_fma_f64 v[20:21], v[38:39], 2.0, -v[26:27]
	v_fma_f64 v[12:13], v[30:31], s[14:15], v[4:5]
	s_delay_alu instid0(VALU_DEP_3) | instskip(NEXT) | instid1(VALU_DEP_3)
	v_fma_f64 v[8:9], v[28:29], s[14:15], v[2:3]
	v_add_f64_e64 v[22:23], v[20:21], -v[22:23]
	s_delay_alu instid0(VALU_DEP_3) | instskip(SKIP_1) | instid1(VALU_DEP_4)
	v_fma_f64 v[42:43], v[28:29], s[14:15], v[12:13]
	v_add_f64_e64 v[12:13], v[6:7], -v[32:33]
	v_fma_f64 v[40:41], v[30:31], s[12:13], v[8:9]
	v_add_f64_e64 v[8:9], v[0:1], -v[16:17]
	v_add_f64_e64 v[16:17], v[14:15], -v[34:35]
	s_delay_alu instid0(VALU_DEP_2) | instskip(NEXT) | instid1(VALU_DEP_2)
	v_add_f64_e64 v[32:33], v[8:9], -v[22:23]
	v_add_f64_e32 v[34:35], v[12:13], v[16:17]
	s_clause 0x1
	scratch_store_b128 off, v[40:43], off offset:8
	scratch_store_b128 off, v[32:35], off offset:24
	v_and_b32_e32 v32, 0xffff, v122
	s_clause 0x1
	scratch_store_b32 off, v56, off offset:948
	scratch_store_b32 off, v32, off offset:872
	s_and_saveexec_b32 s0, vcc_lo
	s_cbranch_execz .LBB0_5
; %bb.4:
	v_fma_f64 v[32:33], v[18:19], 2.0, -v[4:5]
	v_fma_f64 v[18:19], v[26:27], 2.0, -v[30:31]
	;; [unrolled: 1-line block ×7, first 2 shown]
	s_clause 0x1
	scratch_load_b128 v[38:41], off, off offset:24
	scratch_load_b128 v[34:37], off, off offset:8
	v_fma_f64 v[6:7], v[6:7], 2.0, -v[12:13]
	v_fma_f64 v[20:21], v[18:19], s[12:13], v[32:33]
	v_fma_f64 v[22:23], v[24:25], s[12:13], v[26:27]
	v_add_f64_e64 v[14:15], v[0:1], -v[14:15]
	s_delay_alu instid0(VALU_DEP_4) | instskip(NEXT) | instid1(VALU_DEP_4)
	v_add_f64_e64 v[16:17], v[6:7], -v[10:11]
	v_fma_f64 v[20:21], v[24:25], s[14:15], v[20:21]
	s_delay_alu instid0(VALU_DEP_4) | instskip(NEXT) | instid1(VALU_DEP_4)
	v_fma_f64 v[18:19], v[18:19], s[12:13], v[22:23]
	v_fma_f64 v[22:23], v[0:1], 2.0, -v[14:15]
	s_clause 0x1
	scratch_load_b32 v0, off, off offset:872
	scratch_load_b32 v1, off, off offset:528
	v_fma_f64 v[24:25], v[6:7], 2.0, -v[16:17]
	v_fma_f64 v[28:29], v[32:33], 2.0, -v[20:21]
	;; [unrolled: 1-line block ×3, first 2 shown]
	s_wait_loadcnt 0x3
	v_fma_f64 v[10:11], v[12:13], 2.0, -v[40:41]
	v_fma_f64 v[8:9], v[8:9], 2.0, -v[38:39]
	s_wait_loadcnt 0x1
	v_mul_u32_u24_e32 v0, 0x50, v0
	s_wait_loadcnt 0x0
	s_delay_alu instid0(VALU_DEP_1)
	v_or_b32_e32 v0, v0, v1
	scratch_load_b32 v1, off, off           ; 4-byte Folded Reload
	v_fma_f64 v[4:5], v[4:5], 2.0, -v[36:37]
	v_fma_f64 v[2:3], v[2:3], 2.0, -v[34:35]
	s_wait_loadcnt 0x0
	v_add_lshl_u32 v0, v1, v0, 4
	ds_store_b128 v0, v[38:41] offset:960
	ds_store_b128 v0, v[8:11] offset:320
	;; [unrolled: 1-line block ×5, first 2 shown]
	ds_store_b128 v0, v[22:25]
	ds_store_b128 v0, v[26:29] offset:160
	ds_store_b128 v0, v[34:37] offset:1120
.LBB0_5:
	s_wait_alu 0xfffe
	s_or_b32 exec_lo, exec_lo, s0
	v_mad_co_u64_u32 v[64:65], null, 0x50, v246, s[10:11]
	global_wb scope:SCOPE_SE
	s_wait_storecnt_dscnt 0x0
	s_barrier_signal -1
	s_barrier_wait -1
	global_inv scope:SCOPE_SE
	s_mov_b32 s10, 0xe8584caa
	s_mov_b32 s11, 0x3febb67a
	s_clause 0xb
	global_load_b128 v[86:89], v[64:65], off offset:1120
	global_load_b128 v[82:85], v[64:65], off offset:1136
	global_load_b128 v[78:81], v[64:65], off offset:1152
	global_load_b128 v[74:77], v[64:65], off offset:1168
	global_load_b128 v[248:251], v[64:65], off offset:1184
	global_load_b128 v[8:11], v[64:65], off offset:2400
	global_load_b128 v[4:7], v[64:65], off offset:2416
	global_load_b128 v[0:3], v[64:65], off offset:2432
	global_load_b128 v[252:255], v[64:65], off offset:2448
	global_load_b128 v[12:15], v[64:65], off offset:2464
	global_load_b128 v[20:23], v[64:65], off offset:3696
	global_load_b128 v[16:19], v[64:65], off offset:3728
	ds_load_b128 v[24:27], v214 offset:1280
	ds_load_b128 v[28:31], v214 offset:2560
	;; [unrolled: 1-line block ×7, first 2 shown]
	s_mov_b32 s1, 0xbfebb67a
	s_wait_alu 0xfffe
	s_mov_b32 s0, s10
	s_mov_b32 s13, 0x3fee6f0e
	;; [unrolled: 1-line block ×7, first 2 shown]
	s_wait_alu 0xfffe
	s_mov_b32 s18, s14
	s_mov_b32 s21, 0xbfe9e377
	;; [unrolled: 1-line block ×3, first 2 shown]
	ds_load_b128 v[183:186], v214 offset:7424
	ds_load_b128 v[173:176], v214 offset:6144
	;; [unrolled: 1-line block ×3, first 2 shown]
	s_wait_loadcnt_dscnt 0xb09
	v_mul_f64_e32 v[52:53], v[26:27], v[88:89]
	s_wait_loadcnt_dscnt 0xa08
	v_mul_f64_e32 v[56:57], v[30:31], v[84:85]
	v_mul_f64_e32 v[58:59], v[28:29], v[84:85]
	s_wait_loadcnt_dscnt 0x907
	v_mul_f64_e32 v[60:61], v[34:35], v[80:81]
	v_mul_f64_e32 v[62:63], v[32:33], v[80:81]
	v_mul_f64_e32 v[54:55], v[24:25], v[88:89]
	s_clause 0x1
	scratch_store_b128 off, v[86:89], off offset:928
	scratch_store_b128 off, v[82:85], off offset:912
	s_wait_loadcnt_dscnt 0x806
	v_mul_f64_e32 v[66:67], v[38:39], v[76:77]
	v_mul_f64_e32 v[68:69], v[36:37], v[76:77]
	s_wait_loadcnt_dscnt 0x705
	v_mul_f64_e32 v[70:71], v[42:43], v[250:251]
	v_mul_f64_e32 v[72:73], v[40:41], v[250:251]
	s_clause 0x1
	scratch_store_b128 off, v[78:81], off offset:896
	scratch_store_b128 off, v[74:77], off offset:880
	v_fma_f64 v[98:99], v[24:25], v[86:87], -v[52:53]
	s_wait_loadcnt_dscnt 0x604
	v_mul_f64_e32 v[52:53], v[46:47], v[10:11]
	v_fma_f64 v[116:117], v[28:29], v[82:83], -v[56:57]
	v_fma_f64 v[118:119], v[30:31], v[82:83], v[58:59]
	v_fma_f64 v[135:136], v[32:33], v[78:79], -v[60:61]
	v_fma_f64 v[126:127], v[34:35], v[78:79], v[62:63]
	ds_load_b128 v[28:31], v214 offset:5376
	ds_load_b128 v[32:35], v214 offset:6656
	v_fma_f64 v[108:109], v[26:27], v[86:87], v[54:55]
	v_mul_f64_e32 v[54:55], v[44:45], v[10:11]
	ds_load_b128 v[24:27], v214 offset:4096
	v_fma_f64 v[145:146], v[36:37], v[74:75], -v[66:67]
	v_fma_f64 v[147:148], v[38:39], v[74:75], v[68:69]
	v_fma_f64 v[151:152], v[40:41], v[248:249], -v[70:71]
	v_fma_f64 v[149:150], v[42:43], v[248:249], v[72:73]
	ds_load_b128 v[72:75], v214 offset:2304
	s_wait_loadcnt_dscnt 0x507
	v_mul_f64_e32 v[56:57], v[50:51], v[6:7]
	v_mul_f64_e32 v[58:59], v[48:49], v[6:7]
	s_clause 0x1
	global_load_b128 v[80:83], v[64:65], off offset:6256
	global_load_b128 v[76:79], v[64:65], off offset:6272
	s_wait_loadcnt_dscnt 0x503
	v_mul_f64_e32 v[40:41], v[30:31], v[254:255]
	v_mul_f64_e32 v[42:43], v[28:29], v[254:255]
	v_fma_f64 v[84:85], v[44:45], v[8:9], -v[52:53]
	s_wait_loadcnt_dscnt 0x402
	v_mul_f64_e32 v[44:45], v[34:35], v[14:15]
	v_fma_f64 v[90:91], v[46:47], v[8:9], v[54:55]
	ds_load_b128 v[52:55], v214 offset:3328
	s_wait_dscnt 0x2
	v_mul_f64_e32 v[36:37], v[26:27], v[2:3]
	v_mul_f64_e32 v[38:39], v[24:25], v[2:3]
	v_fma_f64 v[94:95], v[48:49], v[4:5], -v[56:57]
	v_fma_f64 v[96:97], v[50:51], v[4:5], v[58:59]
	ds_load_b128 v[48:51], v214 offset:2048
	v_fma_f64 v[114:115], v[28:29], v[252:253], -v[40:41]
	v_fma_f64 v[120:121], v[30:31], v[252:253], v[42:43]
	v_fma_f64 v[141:142], v[32:33], v[12:13], -v[44:45]
	global_load_b128 v[44:47], v[64:65], off offset:3680
	v_fma_f64 v[110:111], v[24:25], v[0:1], -v[36:37]
	v_mul_f64_e32 v[36:37], v[32:33], v[14:15]
	v_fma_f64 v[102:103], v[26:27], v[0:1], v[38:39]
	ds_load_b128 v[24:27], v214 offset:3072
	s_wait_loadcnt_dscnt 0x400
	v_mul_f64_e32 v[28:29], v[26:27], v[22:23]
	v_mul_f64_e32 v[30:31], v[24:25], v[22:23]
	v_fma_f64 v[131:132], v[34:35], v[12:13], v[36:37]
	global_load_b128 v[36:39], v[64:65], off offset:3712
	v_fma_f64 v[24:25], v[24:25], v[20:21], -v[28:29]
	v_fma_f64 v[26:27], v[26:27], v[20:21], v[30:31]
	ds_load_b128 v[28:31], v214 offset:5632
	s_wait_loadcnt_dscnt 0x400
	v_mul_f64_e32 v[32:33], v[30:31], v[18:19]
	s_delay_alu instid0(VALU_DEP_1) | instskip(SKIP_1) | instid1(VALU_DEP_1)
	v_fma_f64 v[86:87], v[28:29], v[16:17], -v[32:33]
	v_mul_f64_e32 v[28:29], v[28:29], v[18:19]
	v_fma_f64 v[88:89], v[30:31], v[16:17], v[28:29]
	ds_load_b128 v[28:31], v214 offset:1792
	s_wait_loadcnt_dscnt 0x100
	v_mul_f64_e32 v[32:33], v[30:31], v[46:47]
	s_delay_alu instid0(VALU_DEP_1) | instskip(SKIP_1) | instid1(VALU_DEP_1)
	v_fma_f64 v[92:93], v[28:29], v[44:45], -v[32:33]
	v_mul_f64_e32 v[28:29], v[28:29], v[46:47]
	v_fma_f64 v[100:101], v[30:31], v[44:45], v[28:29]
	ds_load_b128 v[28:31], v214 offset:4352
	s_wait_loadcnt_dscnt 0x0
	v_mul_f64_e32 v[32:33], v[30:31], v[38:39]
	s_delay_alu instid0(VALU_DEP_1) | instskip(SKIP_2) | instid1(VALU_DEP_1)
	v_fma_f64 v[122:123], v[28:29], v[36:37], -v[32:33]
	global_load_b128 v[32:35], v[64:65], off offset:3744
	v_mul_f64_e32 v[28:29], v[28:29], v[38:39]
	v_fma_f64 v[112:113], v[30:31], v[36:37], v[28:29]
	ds_load_b128 v[28:31], v214 offset:6912
	s_wait_loadcnt_dscnt 0x0
	v_mul_f64_e32 v[40:41], v[30:31], v[34:35]
	s_delay_alu instid0(VALU_DEP_1) | instskip(SKIP_2) | instid1(VALU_DEP_1)
	v_fma_f64 v[143:144], v[28:29], v[32:33], -v[40:41]
	global_load_b128 v[40:43], v[64:65], off offset:4960
	v_mul_f64_e32 v[28:29], v[28:29], v[34:35]
	v_fma_f64 v[133:134], v[30:31], v[32:33], v[28:29]
	s_wait_loadcnt 0x0
	v_mul_f64_e32 v[28:29], v[50:51], v[42:43]
	s_delay_alu instid0(VALU_DEP_1) | instskip(SKIP_1) | instid1(VALU_DEP_1)
	v_fma_f64 v[30:31], v[48:49], v[40:41], -v[28:29]
	v_mul_f64_e32 v[28:29], v[48:49], v[42:43]
	v_fma_f64 v[28:29], v[50:51], v[40:41], v[28:29]
	global_load_b128 v[48:51], v[64:65], off offset:4976
	s_wait_loadcnt 0x0
	v_mul_f64_e32 v[56:57], v[54:55], v[50:51]
	s_delay_alu instid0(VALU_DEP_1)
	v_fma_f64 v[104:105], v[52:53], v[48:49], -v[56:57]
	v_mul_f64_e32 v[52:53], v[52:53], v[50:51]
	ds_load_b128 v[56:59], v214 offset:4608
	v_fma_f64 v[106:107], v[54:55], v[48:49], v[52:53]
	global_load_b128 v[52:55], v[64:65], off offset:4992
	s_wait_loadcnt_dscnt 0x0
	v_mul_f64_e32 v[60:61], v[58:59], v[54:55]
	s_delay_alu instid0(VALU_DEP_1)
	v_fma_f64 v[124:125], v[56:57], v[52:53], -v[60:61]
	v_mul_f64_e32 v[56:57], v[56:57], v[54:55]
	ds_load_b128 v[60:63], v214 offset:5888
	v_fma_f64 v[137:138], v[58:59], v[52:53], v[56:57]
	global_load_b128 v[56:59], v[64:65], off offset:5008
	s_wait_loadcnt_dscnt 0x0
	v_mul_f64_e32 v[66:67], v[62:63], v[58:59]
	s_delay_alu instid0(VALU_DEP_1)
	v_fma_f64 v[139:140], v[60:61], v[56:57], -v[66:67]
	v_mul_f64_e32 v[60:61], v[60:61], v[58:59]
	ds_load_b128 v[66:69], v214 offset:7168
	v_fma_f64 v[153:154], v[62:63], v[56:57], v[60:61]
	global_load_b128 v[60:63], v[64:65], off offset:5024
	s_wait_loadcnt_dscnt 0x0
	v_mul_f64_e32 v[70:71], v[68:69], v[62:63]
	s_delay_alu instid0(VALU_DEP_1) | instskip(SKIP_1) | instid1(VALU_DEP_1)
	v_fma_f64 v[155:156], v[66:67], v[60:61], -v[70:71]
	v_mul_f64_e32 v[66:67], v[66:67], v[62:63]
	v_fma_f64 v[159:160], v[68:69], v[60:61], v[66:67]
	global_load_b128 v[68:71], v[64:65], off offset:6240
	s_wait_loadcnt 0x0
	v_mul_f64_e32 v[66:67], v[74:75], v[70:71]
	s_delay_alu instid0(VALU_DEP_1) | instskip(SKIP_1) | instid1(VALU_DEP_1)
	v_fma_f64 v[157:158], v[72:73], v[68:69], -v[66:67]
	v_mul_f64_e32 v[66:67], v[72:73], v[70:71]
	v_fma_f64 v[161:162], v[74:75], v[68:69], v[66:67]
	ds_load_b128 v[72:75], v214 offset:3584
	s_wait_dscnt 0x0
	v_mul_f64_e32 v[66:67], v[74:75], v[82:83]
	s_delay_alu instid0(VALU_DEP_1) | instskip(SKIP_1) | instid1(VALU_DEP_1)
	v_fma_f64 v[163:164], v[72:73], v[80:81], -v[66:67]
	v_mul_f64_e32 v[66:67], v[72:73], v[82:83]
	v_fma_f64 v[165:166], v[74:75], v[80:81], v[66:67]
	ds_load_b128 v[72:75], v214 offset:4864
	s_wait_dscnt 0x0
	v_mul_f64_e32 v[66:67], v[74:75], v[78:79]
	s_delay_alu instid0(VALU_DEP_1) | instskip(SKIP_1) | instid1(VALU_DEP_1)
	v_fma_f64 v[169:170], v[72:73], v[76:77], -v[66:67]
	v_mul_f64_e32 v[66:67], v[72:73], v[78:79]
	v_fma_f64 v[167:168], v[74:75], v[76:77], v[66:67]
	global_load_b128 v[72:75], v[64:65], off offset:6288
	s_wait_loadcnt 0x0
	v_mul_f64_e32 v[66:67], v[175:176], v[74:75]
	s_delay_alu instid0(VALU_DEP_1) | instskip(SKIP_1) | instid1(VALU_DEP_1)
	v_fma_f64 v[171:172], v[173:174], v[72:73], -v[66:67]
	v_mul_f64_e32 v[66:67], v[173:174], v[74:75]
	v_fma_f64 v[173:174], v[175:176], v[72:73], v[66:67]
	global_load_b128 v[64:67], v[64:65], off offset:6304
	s_wait_loadcnt 0x0
	v_mul_f64_e32 v[128:129], v[185:186], v[66:67]
	s_delay_alu instid0(VALU_DEP_1) | instskip(SKIP_1) | instid1(VALU_DEP_1)
	v_fma_f64 v[177:178], v[183:184], v[64:65], -v[128:129]
	v_mul_f64_e32 v[128:129], v[183:184], v[66:67]
	v_fma_f64 v[175:176], v[185:186], v[64:65], v[128:129]
	v_add_f64_e32 v[128:129], v[116:117], v[145:146]
	ds_load_b128 v[183:186], v247
	s_wait_dscnt 0x0
	v_fma_f64 v[228:229], v[128:129], -0.5, v[183:184]
	v_add_f64_e32 v[128:129], v[118:119], v[147:148]
	s_delay_alu instid0(VALU_DEP_1) | instskip(SKIP_2) | instid1(VALU_DEP_2)
	v_fma_f64 v[230:231], v[128:129], -0.5, v[185:186]
	v_add_f64_e32 v[128:129], v[183:184], v[116:117]
	v_add_f64_e32 v[183:184], v[185:186], v[118:119]
	;; [unrolled: 1-line block ×3, first 2 shown]
	s_delay_alu instid0(VALU_DEP_2) | instskip(SKIP_3) | instid1(VALU_DEP_3)
	v_add_f64_e32 v[189:190], v[183:184], v[147:148]
	v_add_f64_e32 v[183:184], v[98:99], v[135:136]
	v_add_f64_e64 v[145:146], v[116:117], -v[145:146]
	v_add_f64_e64 v[147:148], v[118:119], -v[147:148]
	v_add_f64_e32 v[187:188], v[183:184], v[151:152]
	v_add_f64_e32 v[183:184], v[108:109], v[126:127]
	s_delay_alu instid0(VALU_DEP_1) | instskip(NEXT) | instid1(VALU_DEP_3)
	v_add_f64_e32 v[191:192], v[183:184], v[149:150]
	v_add_f64_e32 v[183:184], v[128:129], v[187:188]
	v_add_f64_e64 v[187:188], v[128:129], -v[187:188]
	v_add_f64_e32 v[128:129], v[94:95], v[114:115]
	s_delay_alu instid0(VALU_DEP_4)
	v_add_f64_e32 v[185:186], v[189:190], v[191:192]
	v_add_f64_e64 v[189:190], v[189:190], -v[191:192]
	ds_load_b128 v[191:194], v214 offset:256
	s_wait_dscnt 0x0
	v_fma_f64 v[232:233], v[128:129], -0.5, v[191:192]
	v_add_f64_e32 v[128:129], v[96:97], v[120:121]
	s_delay_alu instid0(VALU_DEP_1) | instskip(SKIP_2) | instid1(VALU_DEP_2)
	v_fma_f64 v[234:235], v[128:129], -0.5, v[193:194]
	v_add_f64_e32 v[128:129], v[191:192], v[94:95]
	v_add_f64_e32 v[191:192], v[193:194], v[96:97]
	;; [unrolled: 1-line block ×3, first 2 shown]
	s_delay_alu instid0(VALU_DEP_2) | instskip(SKIP_3) | instid1(VALU_DEP_3)
	v_add_f64_e32 v[195:196], v[191:192], v[120:121]
	v_add_f64_e32 v[191:192], v[84:85], v[110:111]
	v_add_f64_e64 v[120:121], v[96:97], -v[120:121]
	v_add_f64_e64 v[114:115], v[94:95], -v[114:115]
	v_add_f64_e32 v[197:198], v[191:192], v[141:142]
	v_add_f64_e32 v[191:192], v[90:91], v[102:103]
	s_delay_alu instid0(VALU_DEP_2) | instskip(NEXT) | instid1(VALU_DEP_2)
	v_add_f64_e64 v[200:201], v[128:129], -v[197:198]
	v_add_f64_e32 v[202:203], v[191:192], v[131:132]
	v_add_f64_e32 v[191:192], v[128:129], v[197:198]
	v_add_f64_e32 v[128:129], v[24:25], v[86:87]
	v_add_f64_e32 v[197:198], v[92:93], v[122:123]
	s_delay_alu instid0(VALU_DEP_4) | instskip(SKIP_1) | instid1(VALU_DEP_4)
	v_add_f64_e32 v[193:194], v[195:196], v[202:203]
	v_add_f64_e64 v[202:203], v[195:196], -v[202:203]
	v_fma_f64 v[179:180], v[128:129], -0.5, v[204:205]
	v_add_f64_e32 v[128:129], v[26:27], v[88:89]
	v_add_f64_e32 v[195:196], v[206:207], v[26:27]
	;; [unrolled: 1-line block ×3, first 2 shown]
	s_delay_alu instid0(VALU_DEP_3) | instskip(SKIP_4) | instid1(VALU_DEP_4)
	v_fma_f64 v[212:213], v[128:129], -0.5, v[206:207]
	v_add_f64_e32 v[128:129], v[204:205], v[24:25]
	v_add_f64_e32 v[204:205], v[100:101], v[112:113]
	;; [unrolled: 1-line block ×3, first 2 shown]
	v_add_f64_e64 v[88:89], v[26:27], -v[88:89]
	v_add_f64_e32 v[128:129], v[128:129], v[86:87]
	s_delay_alu instid0(VALU_DEP_4) | instskip(NEXT) | instid1(VALU_DEP_2)
	v_add_f64_e32 v[210:211], v[204:205], v[133:134]
	v_add_f64_e32 v[204:205], v[128:129], v[197:198]
	v_add_f64_e64 v[208:209], v[128:129], -v[197:198]
	v_add_f64_e32 v[128:129], v[104:105], v[139:140]
	s_delay_alu instid0(VALU_DEP_4)
	v_add_f64_e32 v[206:207], v[195:196], v[210:211]
	v_add_f64_e64 v[210:211], v[195:196], -v[210:211]
	ds_load_b128 v[195:198], v214 offset:768
	s_wait_dscnt 0x0
	v_fma_f64 v[236:237], v[128:129], -0.5, v[195:196]
	v_add_f64_e32 v[128:129], v[106:107], v[153:154]
	s_delay_alu instid0(VALU_DEP_1) | instskip(SKIP_3) | instid1(VALU_DEP_3)
	v_fma_f64 v[238:239], v[128:129], -0.5, v[197:198]
	v_add_f64_e32 v[128:129], v[195:196], v[104:105]
	v_add_f64_e32 v[195:196], v[197:198], v[106:107]
	v_add_f64_e64 v[106:107], v[106:107], -v[153:154]
	v_add_f64_e32 v[128:129], v[128:129], v[139:140]
	s_delay_alu instid0(VALU_DEP_3) | instskip(SKIP_1) | instid1(VALU_DEP_1)
	v_add_f64_e32 v[218:219], v[195:196], v[153:154]
	v_add_f64_e32 v[195:196], v[30:31], v[124:125]
	;; [unrolled: 1-line block ×4, first 2 shown]
	s_delay_alu instid0(VALU_DEP_1) | instskip(NEXT) | instid1(VALU_DEP_3)
	v_add_f64_e32 v[220:221], v[195:196], v[159:160]
	v_add_f64_e32 v[195:196], v[128:129], v[216:217]
	v_add_f64_e64 v[216:217], v[128:129], -v[216:217]
	v_add_f64_e32 v[128:129], v[163:164], v[171:172]
	s_delay_alu instid0(VALU_DEP_4)
	v_add_f64_e32 v[197:198], v[218:219], v[220:221]
	v_add_f64_e64 v[218:219], v[218:219], -v[220:221]
	ds_load_b128 v[220:223], v214 offset:1024
	s_wait_dscnt 0x0
	v_fma_f64 v[240:241], v[128:129], -0.5, v[220:221]
	v_add_f64_e32 v[128:129], v[165:166], v[173:174]
	s_delay_alu instid0(VALU_DEP_1) | instskip(SKIP_2) | instid1(VALU_DEP_2)
	v_fma_f64 v[242:243], v[128:129], -0.5, v[222:223]
	v_add_f64_e32 v[128:129], v[220:221], v[163:164]
	v_add_f64_e32 v[220:221], v[222:223], v[165:166]
	;; [unrolled: 1-line block ×3, first 2 shown]
	s_delay_alu instid0(VALU_DEP_2) | instskip(SKIP_1) | instid1(VALU_DEP_1)
	v_add_f64_e32 v[226:227], v[220:221], v[173:174]
	v_add_f64_e32 v[220:221], v[157:158], v[169:170]
	;; [unrolled: 1-line block ×4, first 2 shown]
	s_delay_alu instid0(VALU_DEP_1) | instskip(NEXT) | instid1(VALU_DEP_3)
	v_add_f64_e32 v[244:245], v[220:221], v[175:176]
	v_add_f64_e32 v[220:221], v[128:129], v[224:225]
	v_add_f64_e64 v[224:225], v[128:129], -v[224:225]
	v_add_f64_e32 v[128:129], v[135:136], v[151:152]
	v_add_f64_e64 v[135:136], v[135:136], -v[151:152]
	;; [unrolled: 2-line block ×4, first 2 shown]
	v_fma_f64 v[244:245], v[145:146], s[0:1], v[230:231]
	v_fma_f64 v[98:99], v[128:129], -0.5, v[98:99]
	v_fma_f64 v[108:109], v[151:152], -0.5, v[108:109]
	v_fma_f64 v[151:152], v[147:148], s[10:11], v[228:229]
	s_delay_alu instid0(VALU_DEP_3) | instskip(SKIP_1) | instid1(VALU_DEP_4)
	v_fma_f64 v[118:119], v[149:150], s[10:11], v[98:99]
	v_fma_f64 v[98:99], v[149:150], s[0:1], v[98:99]
	;; [unrolled: 1-line block ×5, first 2 shown]
	s_delay_alu instid0(VALU_DEP_3) | instskip(NEXT) | instid1(VALU_DEP_1)
	v_mul_f64_e32 v[126:127], s[10:11], v[116:117]
	v_fma_f64 v[126:127], v[118:119], 0.5, v[126:127]
	v_mul_f64_e32 v[118:119], s[0:1], v[118:119]
	s_delay_alu instid0(VALU_DEP_1) | instskip(NEXT) | instid1(VALU_DEP_3)
	v_fma_f64 v[128:129], v[116:117], 0.5, v[118:119]
	v_add_f64_e32 v[116:117], v[151:152], v[126:127]
	v_add_f64_e64 v[126:127], v[151:152], -v[126:127]
	v_fma_f64 v[151:152], v[145:146], s[10:11], v[230:231]
	v_mul_f64_e32 v[145:146], -0.5, v[98:99]
	v_add_f64_e32 v[118:119], v[244:245], v[128:129]
	v_add_f64_e64 v[128:129], v[244:245], -v[128:129]
	s_delay_alu instid0(VALU_DEP_3) | instskip(SKIP_1) | instid1(VALU_DEP_2)
	v_fma_f64 v[149:150], v[108:109], s[10:11], v[145:146]
	v_mul_f64_e32 v[108:109], -0.5, v[108:109]
	v_add_f64_e32 v[145:146], v[135:136], v[149:150]
	s_delay_alu instid0(VALU_DEP_2)
	v_fma_f64 v[98:99], v[98:99], s[0:1], v[108:109]
	v_add_f64_e32 v[108:109], v[102:103], v[131:132]
	v_add_f64_e64 v[102:103], v[102:103], -v[131:132]
	v_add_f64_e64 v[149:150], v[135:136], -v[149:150]
	;; [unrolled: 1-line block ×3, first 2 shown]
	v_fma_f64 v[131:132], v[114:115], s[0:1], v[234:235]
	v_add_f64_e32 v[147:148], v[151:152], v[98:99]
	v_add_f64_e64 v[151:152], v[151:152], -v[98:99]
	v_add_f64_e32 v[98:99], v[110:111], v[141:142]
	v_fma_f64 v[90:91], v[108:109], -0.5, v[90:91]
	v_fma_f64 v[108:109], v[120:121], s[10:11], v[232:233]
	v_add_f64_e64 v[141:142], v[163:164], -v[171:172]
	s_delay_alu instid0(VALU_DEP_4) | instskip(NEXT) | instid1(VALU_DEP_4)
	v_fma_f64 v[84:85], v[98:99], -0.5, v[84:85]
	v_fma_f64 v[94:95], v[135:136], s[0:1], v[90:91]
	v_fma_f64 v[90:91], v[135:136], s[10:11], v[90:91]
	s_delay_alu instid0(VALU_DEP_3) | instskip(SKIP_3) | instid1(VALU_DEP_3)
	v_fma_f64 v[96:97], v[102:103], s[10:11], v[84:85]
	v_fma_f64 v[84:85], v[102:103], s[0:1], v[84:85]
	;; [unrolled: 1-line block ×3, first 2 shown]
	v_mul_f64_e32 v[98:99], s[10:11], v[94:95]
	v_mul_f64_e32 v[114:115], -0.5, v[84:85]
	s_delay_alu instid0(VALU_DEP_2) | instskip(SKIP_1) | instid1(VALU_DEP_3)
	v_fma_f64 v[98:99], v[96:97], 0.5, v[98:99]
	v_mul_f64_e32 v[96:97], s[0:1], v[96:97]
	v_fma_f64 v[114:115], v[90:91], s[10:11], v[114:115]
	v_mul_f64_e32 v[90:91], -0.5, v[90:91]
	s_delay_alu instid0(VALU_DEP_3)
	v_fma_f64 v[110:111], v[94:95], 0.5, v[96:97]
	v_add_f64_e32 v[94:95], v[108:109], v[98:99]
	v_add_f64_e64 v[108:109], v[108:109], -v[98:99]
	v_fma_f64 v[98:99], v[120:121], s[0:1], v[232:233]
	v_add_f64_e64 v[120:121], v[104:105], -v[139:140]
	v_add_f64_e64 v[139:140], v[165:166], -v[173:174]
	v_fma_f64 v[84:85], v[84:85], s[0:1], v[90:91]
	v_add_f64_e64 v[90:91], v[122:123], -v[143:144]
	v_add_f64_e32 v[96:97], v[131:132], v[110:111]
	v_add_f64_e64 v[110:111], v[131:132], -v[110:111]
	v_add_f64_e32 v[228:229], v[98:99], v[114:115]
	;; [unrolled: 2-line block ×3, first 2 shown]
	v_fma_f64 v[131:132], v[120:121], s[10:11], v[238:239]
	v_fma_f64 v[153:154], v[139:140], s[10:11], v[240:241]
	v_add_f64_e32 v[230:231], v[102:103], v[84:85]
	v_add_f64_e64 v[234:235], v[102:103], -v[84:85]
	v_add_f64_e32 v[84:85], v[122:123], v[143:144]
	v_add_f64_e64 v[102:103], v[112:113], -v[133:134]
	v_fma_f64 v[112:113], v[88:89], s[10:11], v[179:180]
	v_add_f64_e64 v[122:123], v[124:125], -v[155:156]
	v_add_f64_e64 v[143:144], v[167:168], -v[175:176]
	v_fma_f64 v[98:99], v[98:99], -0.5, v[100:101]
	v_add_f64_e64 v[100:101], v[24:25], -v[86:87]
	v_fma_f64 v[92:93], v[84:85], -0.5, v[92:93]
	s_delay_alu instid0(VALU_DEP_3)
	v_fma_f64 v[24:25], v[90:91], s[0:1], v[98:99]
	v_fma_f64 v[90:91], v[90:91], s[10:11], v[98:99]
	;; [unrolled: 1-line block ×7, first 2 shown]
	v_mul_f64_e32 v[84:85], s[10:11], v[24:25]
	s_delay_alu instid0(VALU_DEP_2) | instskip(NEXT) | instid1(VALU_DEP_2)
	v_mul_f64_e32 v[88:89], -0.5, v[92:93]
	v_fma_f64 v[84:85], v[26:27], 0.5, v[84:85]
	v_mul_f64_e32 v[26:27], s[0:1], v[26:27]
	s_delay_alu instid0(VALU_DEP_3) | instskip(SKIP_1) | instid1(VALU_DEP_3)
	v_fma_f64 v[102:103], v[90:91], s[10:11], v[88:89]
	v_mul_f64_e32 v[88:89], -0.5, v[90:91]
	v_fma_f64 v[86:87], v[24:25], 0.5, v[26:27]
	v_add_f64_e32 v[24:25], v[112:113], v[84:85]
	v_add_f64_e64 v[84:85], v[112:113], -v[84:85]
	v_add_f64_e64 v[112:113], v[137:138], -v[159:160]
	v_fma_f64 v[92:93], v[92:93], s[0:1], v[88:89]
	v_add_f64_e32 v[88:89], v[98:99], v[102:103]
	v_add_f64_e64 v[98:99], v[98:99], -v[102:103]
	v_add_f64_e32 v[102:103], v[124:125], v[155:156]
	v_add_f64_e32 v[26:27], v[114:115], v[86:87]
	v_add_f64_e64 v[86:87], v[114:115], -v[86:87]
	v_fma_f64 v[124:125], v[106:107], s[0:1], v[236:237]
	v_fma_f64 v[106:107], v[106:107], s[10:11], v[236:237]
	;; [unrolled: 1-line block ×3, first 2 shown]
	v_add_f64_e32 v[90:91], v[100:101], v[92:93]
	v_add_f64_e64 v[100:101], v[100:101], -v[92:93]
	v_add_f64_e32 v[92:93], v[137:138], v[159:160]
	v_fma_f64 v[114:115], v[102:103], -0.5, v[30:31]
	s_delay_alu instid0(VALU_DEP_2) | instskip(NEXT) | instid1(VALU_DEP_2)
	v_fma_f64 v[92:93], v[92:93], -0.5, v[28:29]
	v_fma_f64 v[28:29], v[112:113], s[0:1], v[114:115]
	v_fma_f64 v[112:113], v[112:113], s[10:11], v[114:115]
	s_delay_alu instid0(VALU_DEP_3) | instskip(SKIP_1) | instid1(VALU_DEP_4)
	v_fma_f64 v[30:31], v[122:123], s[10:11], v[92:93]
	v_fma_f64 v[92:93], v[122:123], s[0:1], v[92:93]
	v_mul_f64_e32 v[102:103], -0.5, v[28:29]
	v_fma_f64 v[122:123], v[120:121], s[0:1], v[238:239]
	s_delay_alu instid0(VALU_DEP_3) | instskip(NEXT) | instid1(VALU_DEP_3)
	v_mul_f64_e32 v[114:115], s[10:11], v[92:93]
	v_fma_f64 v[102:103], v[30:31], s[10:11], v[102:103]
	v_mul_f64_e32 v[30:31], -0.5, v[30:31]
	s_delay_alu instid0(VALU_DEP_3) | instskip(SKIP_1) | instid1(VALU_DEP_3)
	v_fma_f64 v[120:121], v[112:113], 0.5, v[114:115]
	v_mul_f64_e32 v[112:113], s[0:1], v[112:113]
	v_fma_f64 v[104:105], v[28:29], s[0:1], v[30:31]
	v_add_f64_e32 v[28:29], v[124:125], v[102:103]
	v_add_f64_e64 v[102:103], v[124:125], -v[102:103]
	v_add_f64_e32 v[124:125], v[167:168], v[175:176]
	v_fma_f64 v[92:93], v[92:93], 0.5, v[112:113]
	v_add_f64_e32 v[112:113], v[106:107], v[120:121]
	v_add_f64_e64 v[120:121], v[106:107], -v[120:121]
	v_add_f64_e64 v[106:107], v[169:170], -v[177:178]
	v_fma_f64 v[124:125], v[124:125], -0.5, v[161:162]
	v_add_f64_e32 v[30:31], v[131:132], v[104:105]
	v_add_f64_e64 v[104:105], v[131:132], -v[104:105]
	v_add_f64_e32 v[114:115], v[122:123], v[92:93]
	v_add_f64_e64 v[122:123], v[122:123], -v[92:93]
	v_add_f64_e32 v[92:93], v[169:170], v[177:178]
	v_fma_f64 v[131:132], v[106:107], s[0:1], v[124:125]
	v_fma_f64 v[106:107], v[106:107], s[10:11], v[124:125]
	;; [unrolled: 1-line block ×3, first 2 shown]
	s_delay_alu instid0(VALU_DEP_4) | instskip(NEXT) | instid1(VALU_DEP_4)
	v_fma_f64 v[92:93], v[92:93], -0.5, v[157:158]
	v_mul_f64_e32 v[135:136], s[10:11], v[131:132]
	s_delay_alu instid0(VALU_DEP_2) | instskip(SKIP_2) | instid1(VALU_DEP_3)
	v_fma_f64 v[133:134], v[143:144], s[10:11], v[92:93]
	v_fma_f64 v[92:93], v[143:144], s[0:1], v[92:93]
	;; [unrolled: 1-line block ×3, first 2 shown]
	v_fma_f64 v[135:136], v[133:134], 0.5, v[135:136]
	v_mul_f64_e32 v[133:134], s[0:1], v[133:134]
	s_delay_alu instid0(VALU_DEP_4) | instskip(NEXT) | instid1(VALU_DEP_2)
	v_mul_f64_e32 v[139:140], -0.5, v[92:93]
	v_fma_f64 v[137:138], v[131:132], 0.5, v[133:134]
	s_delay_alu instid0(VALU_DEP_4) | instskip(SKIP_1) | instid1(VALU_DEP_4)
	v_add_f64_e32 v[131:132], v[153:154], v[135:136]
	v_add_f64_e64 v[135:136], v[153:154], -v[135:136]
	v_fma_f64 v[153:154], v[106:107], s[10:11], v[139:140]
	v_mul_f64_e32 v[106:107], -0.5, v[106:107]
	s_mov_b32 s10, 0x134454ff
	s_mov_b32 s11, 0xbfee6f0e
	s_wait_alu 0xfffe
	s_mov_b32 s12, s10
	v_add_f64_e32 v[133:134], v[155:156], v[137:138]
	v_add_f64_e64 v[137:138], v[155:156], -v[137:138]
	s_delay_alu instid0(VALU_DEP_4) | instskip(NEXT) | instid1(VALU_DEP_4)
	v_add_f64_e32 v[139:140], v[124:125], v[153:154]
	v_fma_f64 v[92:93], v[92:93], s[0:1], v[106:107]
	v_add_f64_e64 v[153:154], v[124:125], -v[153:154]
	s_add_nc_u64 s[0:1], s[8:9], 0x1e00
	s_mov_b32 s8, 0x4755a5e
	s_mov_b32 s9, 0xbfe2cf23
	s_delay_alu instid0(VALU_DEP_2)
	v_add_f64_e32 v[141:142], v[143:144], v[92:93]
	v_add_f64_e64 v[155:156], v[143:144], -v[92:93]
	ds_store_b128 v247, v[183:186]
	ds_store_b128 v214, v[187:190] offset:3840
	ds_store_b128 v214, v[200:203] offset:4096
	;; [unrolled: 1-line block ×29, first 2 shown]
	global_wb scope:SCOPE_SE
	s_wait_storecnt_dscnt 0x0
	s_barrier_signal -1
	s_barrier_wait -1
	global_inv scope:SCOPE_SE
	scratch_load_b64 v[24:25], off, off offset:952 th:TH_LOAD_LU ; 8-byte Folded Reload
	ds_load_b128 v[28:31], v247
	s_wait_loadcnt 0x0
	global_load_b128 v[24:27], v[24:25], off offset:7680
	s_wait_loadcnt_dscnt 0x0
	v_mul_f64_e32 v[84:85], v[30:31], v[26:27]
	v_mul_f64_e32 v[86:87], v[28:29], v[26:27]
	s_delay_alu instid0(VALU_DEP_2) | instskip(NEXT) | instid1(VALU_DEP_2)
	v_fma_f64 v[26:27], v[28:29], v[24:25], -v[84:85]
	v_fma_f64 v[28:29], v[30:31], v[24:25], v[86:87]
	ds_store_b128 v247, v[26:29]
	global_load_b128 v[24:27], v215, s[0:1] offset:768
	ds_load_b128 v[28:31], v214 offset:768
	ds_load_b128 v[139:142], v214 offset:1024
	;; [unrolled: 1-line block ×29, first 2 shown]
	s_wait_loadcnt_dscnt 0x1c
	v_mul_f64_e32 v[84:85], v[30:31], v[26:27]
	v_mul_f64_e32 v[86:87], v[28:29], v[26:27]
	s_delay_alu instid0(VALU_DEP_2) | instskip(NEXT) | instid1(VALU_DEP_2)
	v_fma_f64 v[26:27], v[28:29], v[24:25], -v[84:85]
	v_fma_f64 v[28:29], v[30:31], v[24:25], v[86:87]
	global_load_b128 v[84:87], v215, s[0:1] offset:1536
	s_wait_loadcnt_dscnt 0x1a
	v_mul_f64_e32 v[24:25], v[90:91], v[86:87]
	v_mul_f64_e32 v[30:31], v[88:89], v[86:87]
	s_delay_alu instid0(VALU_DEP_2) | instskip(NEXT) | instid1(VALU_DEP_2)
	v_fma_f64 v[86:87], v[88:89], v[84:85], -v[24:25]
	v_fma_f64 v[88:89], v[90:91], v[84:85], v[30:31]
	global_load_b128 v[90:93], v215, s[0:1] offset:2304
	;; [unrolled: 7-line block ×10, first 2 shown]
	s_wait_loadcnt 0x0
	v_mul_f64_e32 v[24:25], v[141:142], v[128:129]
	v_mul_f64_e32 v[30:31], v[139:140], v[128:129]
	s_delay_alu instid0(VALU_DEP_2) | instskip(NEXT) | instid1(VALU_DEP_2)
	v_fma_f64 v[139:140], v[139:140], v[126:127], -v[24:25]
	v_fma_f64 v[141:142], v[141:142], v[126:127], v[30:31]
	global_load_b128 v[126:129], v215, s[0:1] offset:1792
	s_wait_loadcnt_dscnt 0x8
	v_mul_f64_e32 v[24:25], v[145:146], v[128:129]
	v_mul_f64_e32 v[30:31], v[143:144], v[128:129]
	s_delay_alu instid0(VALU_DEP_2) | instskip(NEXT) | instid1(VALU_DEP_2)
	v_fma_f64 v[143:144], v[143:144], v[126:127], -v[24:25]
	v_fma_f64 v[145:146], v[145:146], v[126:127], v[30:31]
	global_load_b128 v[126:129], v215, s[0:1] offset:2560
	s_wait_loadcnt 0x0
	v_mul_f64_e32 v[24:25], v[149:150], v[128:129]
	v_mul_f64_e32 v[30:31], v[147:148], v[128:129]
	s_delay_alu instid0(VALU_DEP_2) | instskip(NEXT) | instid1(VALU_DEP_2)
	v_fma_f64 v[147:148], v[147:148], v[126:127], -v[24:25]
	v_fma_f64 v[149:150], v[149:150], v[126:127], v[30:31]
	global_load_b128 v[126:129], v215, s[0:1] offset:3328
	s_wait_loadcnt_dscnt 0x6
	v_mul_f64_e32 v[24:25], v[153:154], v[128:129]
	v_mul_f64_e32 v[30:31], v[151:152], v[128:129]
	s_delay_alu instid0(VALU_DEP_2) | instskip(NEXT) | instid1(VALU_DEP_2)
	v_fma_f64 v[151:152], v[151:152], v[126:127], -v[24:25]
	v_fma_f64 v[153:154], v[153:154], v[126:127], v[30:31]
	global_load_b128 v[126:129], v215, s[0:1] offset:4096
	;; [unrolled: 14-line block ×4, first 2 shown]
	s_wait_loadcnt 0x0
	v_mul_f64_e32 v[24:25], v[173:174], v[128:129]
	v_mul_f64_e32 v[30:31], v[171:172], v[128:129]
	s_delay_alu instid0(VALU_DEP_2) | instskip(NEXT) | instid1(VALU_DEP_2)
	v_fma_f64 v[171:172], v[171:172], v[126:127], -v[24:25]
	v_fma_f64 v[173:174], v[173:174], v[126:127], v[30:31]
	global_load_b128 v[126:129], v215, s[0:1] offset:512
	s_wait_loadcnt 0x0
	v_mul_f64_e32 v[24:25], v[177:178], v[128:129]
	v_mul_f64_e32 v[30:31], v[175:176], v[128:129]
	s_delay_alu instid0(VALU_DEP_2) | instskip(NEXT) | instid1(VALU_DEP_2)
	v_fma_f64 v[175:176], v[175:176], v[126:127], -v[24:25]
	v_fma_f64 v[177:178], v[177:178], v[126:127], v[30:31]
	global_load_b128 v[126:129], v215, s[0:1] offset:1280
	;; [unrolled: 7-line block ×9, first 2 shown]
	s_wait_loadcnt_dscnt 0x1
	v_mul_f64_e32 v[24:25], v[218:219], v[128:129]
	v_mul_f64_e32 v[30:31], v[216:217], v[128:129]
	s_delay_alu instid0(VALU_DEP_2) | instskip(NEXT) | instid1(VALU_DEP_2)
	v_fma_f64 v[216:217], v[216:217], v[126:127], -v[24:25]
	v_fma_f64 v[218:219], v[218:219], v[126:127], v[30:31]
	global_load_b128 v[126:129], v215, s[0:1] offset:7424
	s_mov_b32 s1, 0x3fe2cf23
	s_wait_alu 0xfffe
	s_mov_b32 s0, s8
	s_wait_loadcnt_dscnt 0x0
	v_mul_f64_e32 v[24:25], v[222:223], v[128:129]
	v_mul_f64_e32 v[30:31], v[220:221], v[128:129]
	s_delay_alu instid0(VALU_DEP_2) | instskip(NEXT) | instid1(VALU_DEP_2)
	v_fma_f64 v[220:221], v[220:221], v[126:127], -v[24:25]
	v_fma_f64 v[222:223], v[222:223], v[126:127], v[30:31]
	ds_store_b128 v214, v[26:29] offset:768
	ds_store_b128 v214, v[139:142] offset:1024
	ds_store_b128 v214, v[92:95] offset:2304
	ds_store_b128 v214, v[147:150] offset:2560
	ds_store_b128 v214, v[104:107] offset:3840
	ds_store_b128 v214, v[155:158] offset:4096
	ds_store_b128 v214, v[116:119] offset:5376
	ds_store_b128 v214, v[163:166] offset:5632
	ds_store_b128 v214, v[131:134] offset:6912
	ds_store_b128 v214, v[171:174] offset:7168
	ds_store_b128 v214, v[135:138] offset:256
	ds_store_b128 v214, v[175:178] offset:512
	ds_store_b128 v214, v[86:89] offset:1536
	ds_store_b128 v214, v[183:186] offset:1280
	ds_store_b128 v214, v[143:146] offset:1792
	ds_store_b128 v214, v[187:190] offset:2048
	ds_store_b128 v214, v[98:101] offset:3072
	ds_store_b128 v214, v[191:194] offset:2816
	ds_store_b128 v214, v[151:154] offset:3328
	ds_store_b128 v214, v[195:198] offset:3584
	ds_store_b128 v214, v[110:113] offset:4608
	ds_store_b128 v214, v[199:202] offset:4352
	ds_store_b128 v214, v[159:162] offset:4864
	ds_store_b128 v214, v[203:206] offset:5120
	ds_store_b128 v214, v[122:125] offset:6144
	ds_store_b128 v214, v[207:210] offset:5888
	ds_store_b128 v214, v[167:170] offset:6400
	ds_store_b128 v214, v[216:219] offset:6656
	ds_store_b128 v214, v[220:223] offset:7424
	global_wb scope:SCOPE_SE
	s_wait_dscnt 0x0
	s_barrier_signal -1
	s_barrier_wait -1
	global_inv scope:SCOPE_SE
	ds_load_b128 v[88:91], v214 offset:1536
	ds_load_b128 v[84:87], v247
	ds_load_b128 v[100:103], v214 offset:6144
	ds_load_b128 v[94:97], v214 offset:3072
	;; [unrolled: 1-line block ×3, first 2 shown]
	s_wait_dscnt 0x3
	v_add_f64_e32 v[28:29], v[84:85], v[88:89]
	v_add_f64_e32 v[30:31], v[86:87], v[90:91]
	s_wait_dscnt 0x2
	v_add_f64_e32 v[112:113], v[88:89], v[100:101]
	v_add_f64_e32 v[116:117], v[90:91], v[102:103]
	v_add_f64_e64 v[24:25], v[90:91], -v[102:103]
	s_wait_dscnt 0x1
	v_add_f64_e64 v[128:129], v[88:89], -v[94:95]
	v_add_f64_e64 v[92:93], v[94:95], -v[88:89]
	;; [unrolled: 1-line block ×5, first 2 shown]
	s_wait_dscnt 0x0
	v_add_f64_e32 v[133:134], v[96:97], v[106:107]
	v_add_f64_e32 v[131:132], v[94:95], v[104:105]
	v_add_f64_e64 v[137:138], v[100:101], -v[104:105]
	v_add_f64_e64 v[139:140], v[102:103], -v[106:107]
	v_add_f64_e32 v[90:91], v[28:29], v[94:95]
	v_add_f64_e32 v[98:99], v[30:31], v[96:97]
	v_add_f64_e64 v[28:29], v[96:97], -v[106:107]
	v_add_f64_e64 v[30:31], v[94:95], -v[104:105]
	;; [unrolled: 1-line block ×3, first 2 shown]
	v_fma_f64 v[112:113], v[112:113], -0.5, v[84:85]
	v_add_f64_e32 v[128:129], v[128:129], v[137:138]
	v_add_f64_e32 v[90:91], v[90:91], v[104:105]
	;; [unrolled: 1-line block ×3, first 2 shown]
	v_add_f64_e64 v[98:99], v[106:107], -v[102:103]
	s_delay_alu instid0(VALU_DEP_3) | instskip(NEXT) | instid1(VALU_DEP_3)
	v_add_f64_e32 v[141:142], v[90:91], v[100:101]
	v_add_f64_e32 v[143:144], v[96:97], v[102:103]
	ds_load_b128 v[124:127], v214 offset:768
	ds_load_b128 v[100:103], v214 offset:2304
	;; [unrolled: 1-line block ×4, first 2 shown]
	v_add_f64_e32 v[88:89], v[88:89], v[98:99]
	s_wait_dscnt 0x2
	v_add_f64_e32 v[122:123], v[126:127], v[102:103]
	v_add_f64_e32 v[120:121], v[124:125], v[100:101]
	s_wait_dscnt 0x1
	v_add_f64_e32 v[145:146], v[100:101], v[104:105]
	s_wait_dscnt 0x0
	v_add_f64_e64 v[149:150], v[100:101], -v[108:109]
	v_add_f64_e64 v[114:115], v[108:109], -v[100:101]
	;; [unrolled: 1-line block ×5, first 2 shown]
	v_add_f64_e32 v[147:148], v[102:103], v[106:107]
	v_add_f64_e64 v[90:91], v[102:103], -v[106:107]
	v_add_f64_e32 v[155:156], v[122:123], v[110:111]
	v_add_f64_e32 v[153:154], v[120:121], v[108:109]
	ds_load_b128 v[120:123], v214 offset:5376
	s_wait_dscnt 0x0
	v_add_f64_e32 v[159:160], v[110:111], v[122:123]
	v_add_f64_e64 v[100:101], v[110:111], -v[122:123]
	v_add_f64_e32 v[157:158], v[108:109], v[120:121]
	v_add_f64_e64 v[102:103], v[108:109], -v[120:121]
	v_add_f64_e32 v[110:111], v[155:156], v[122:123]
	v_add_f64_e32 v[108:109], v[153:154], v[120:121]
	v_add_f64_e64 v[155:156], v[106:107], -v[122:123]
	v_add_f64_e64 v[122:123], v[122:123], -v[106:107]
	;; [unrolled: 1-line block ×4, first 2 shown]
	v_add_f64_e32 v[163:164], v[110:111], v[106:107]
	v_fma_f64 v[106:107], v[159:160], -0.5, v[126:127]
	v_add_f64_e32 v[161:162], v[108:109], v[104:105]
	v_fma_f64 v[104:105], v[131:132], -0.5, v[84:85]
	v_fma_f64 v[84:85], v[133:134], -0.5, v[86:87]
	;; [unrolled: 1-line block ×5, first 2 shown]
	v_add_f64_e32 v[147:148], v[151:152], v[155:156]
	v_fma_f64 v[108:109], v[145:146], -0.5, v[124:125]
	v_add_f64_e32 v[145:146], v[149:150], v[153:154]
	v_add_f64_e32 v[98:99], v[114:115], v[120:121]
	;; [unrolled: 1-line block ×4, first 2 shown]
	v_add_f64_e64 v[133:134], v[143:144], -v[163:164]
	v_add_f64_e32 v[143:144], v[135:136], v[139:140]
	v_fma_f64 v[135:136], v[96:97], s[12:13], v[106:107]
	v_add_f64_e32 v[124:125], v[141:142], v[161:162]
	v_add_f64_e64 v[131:132], v[141:142], -v[161:162]
	v_fma_f64 v[137:138], v[90:91], s[10:11], v[86:87]
	s_wait_alu 0xfffe
	s_delay_alu instid0(VALU_DEP_4) | instskip(NEXT) | instid1(VALU_DEP_2)
	v_fma_f64 v[135:136], v[102:103], s[0:1], v[135:136]
	v_fma_f64 v[137:138], v[100:101], s[8:9], v[137:138]
	s_delay_alu instid0(VALU_DEP_2) | instskip(NEXT) | instid1(VALU_DEP_2)
	v_fma_f64 v[135:136], v[147:148], s[14:15], v[135:136]
	v_fma_f64 v[137:138], v[145:146], s[14:15], v[137:138]
	s_delay_alu instid0(VALU_DEP_2) | instskip(NEXT) | instid1(VALU_DEP_1)
	v_mul_f64_e32 v[139:140], s[8:9], v[135:136]
	v_fma_f64 v[139:140], v[137:138], s[16:17], v[139:140]
	v_mul_f64_e32 v[137:138], s[0:1], v[137:138]
	s_delay_alu instid0(VALU_DEP_1) | instskip(SKIP_2) | instid1(VALU_DEP_2)
	v_fma_f64 v[141:142], v[135:136], s[16:17], v[137:138]
	v_fma_f64 v[135:136], v[24:25], s[10:11], v[104:105]
	;; [unrolled: 1-line block ×4, first 2 shown]
	s_delay_alu instid0(VALU_DEP_2) | instskip(NEXT) | instid1(VALU_DEP_2)
	v_fma_f64 v[137:138], v[30:31], s[0:1], v[137:138]
	v_fma_f64 v[149:150], v[128:129], s[14:15], v[135:136]
	s_delay_alu instid0(VALU_DEP_2) | instskip(NEXT) | instid1(VALU_DEP_2)
	v_fma_f64 v[151:152], v[143:144], s[14:15], v[137:138]
	v_add_f64_e32 v[135:136], v[149:150], v[139:140]
	v_add_f64_e64 v[139:140], v[149:150], -v[139:140]
	v_add_f64_e32 v[149:150], v[92:93], v[94:95]
	v_fma_f64 v[92:93], v[102:103], s[10:11], v[116:117]
	v_fma_f64 v[94:95], v[100:101], s[12:13], v[108:109]
	v_add_f64_e32 v[137:138], v[151:152], v[141:142]
	v_add_f64_e64 v[141:142], v[151:152], -v[141:142]
	v_fma_f64 v[108:109], v[100:101], s[10:11], v[108:109]
	v_fma_f64 v[92:93], v[96:97], s[0:1], v[92:93]
	;; [unrolled: 1-line block ×3, first 2 shown]
	s_delay_alu instid0(VALU_DEP_3) | instskip(NEXT) | instid1(VALU_DEP_3)
	v_fma_f64 v[108:109], v[90:91], s[0:1], v[108:109]
	v_fma_f64 v[92:93], v[114:115], s[14:15], v[92:93]
	s_delay_alu instid0(VALU_DEP_3) | instskip(NEXT) | instid1(VALU_DEP_3)
	v_fma_f64 v[94:95], v[98:99], s[14:15], v[94:95]
	v_fma_f64 v[98:99], v[98:99], s[14:15], v[108:109]
	s_delay_alu instid0(VALU_DEP_3) | instskip(SKIP_1) | instid1(VALU_DEP_2)
	v_mul_f64_e32 v[118:119], s[10:11], v[92:93]
	v_mul_f64_e32 v[92:93], s[14:15], v[92:93]
	v_fma_f64 v[118:119], v[94:95], s[14:15], v[118:119]
	s_delay_alu instid0(VALU_DEP_2) | instskip(SKIP_4) | instid1(VALU_DEP_4)
	v_fma_f64 v[120:121], v[94:95], s[12:13], v[92:93]
	v_fma_f64 v[94:95], v[30:31], s[10:11], v[110:111]
	;; [unrolled: 1-line block ×6, first 2 shown]
	s_delay_alu instid0(VALU_DEP_4) | instskip(NEXT) | instid1(VALU_DEP_4)
	v_fma_f64 v[110:111], v[26:27], s[8:9], v[110:111]
	v_fma_f64 v[92:93], v[24:25], s[8:9], v[92:93]
	s_delay_alu instid0(VALU_DEP_4)
	v_fma_f64 v[112:113], v[24:25], s[0:1], v[112:113]
	v_fma_f64 v[24:25], v[24:25], s[12:13], v[104:105]
	;; [unrolled: 1-line block ×12, first 2 shown]
	v_add_f64_e32 v[94:95], v[151:152], v[120:121]
	v_add_f64_e64 v[120:121], v[151:152], -v[120:121]
	v_fma_f64 v[110:111], v[96:97], s[8:9], v[110:111]
	v_fma_f64 v[84:85], v[128:129], s[14:15], v[24:25]
	;; [unrolled: 1-line block ×3, first 2 shown]
	v_add_f64_e32 v[92:93], v[122:123], v[118:119]
	v_add_f64_e64 v[118:119], v[122:123], -v[118:119]
	v_fma_f64 v[110:111], v[114:115], s[14:15], v[110:111]
	s_delay_alu instid0(VALU_DEP_1) | instskip(SKIP_1) | instid1(VALU_DEP_2)
	v_mul_f64_e32 v[108:109], s[10:11], v[110:111]
	v_mul_f64_e32 v[110:111], s[18:19], v[110:111]
	v_fma_f64 v[114:115], v[98:99], s[18:19], v[108:109]
	s_delay_alu instid0(VALU_DEP_2) | instskip(NEXT) | instid1(VALU_DEP_2)
	v_fma_f64 v[98:99], v[98:99], s[12:13], v[110:111]
	v_add_f64_e32 v[108:109], v[112:113], v[114:115]
	s_delay_alu instid0(VALU_DEP_2) | instskip(SKIP_3) | instid1(VALU_DEP_1)
	v_add_f64_e32 v[110:111], v[88:89], v[98:99]
	v_add_f64_e64 v[112:113], v[112:113], -v[114:115]
	v_add_f64_e64 v[114:115], v[88:89], -v[98:99]
	v_fma_f64 v[88:89], v[96:97], s[10:11], v[106:107]
	v_fma_f64 v[86:87], v[102:103], s[8:9], v[88:89]
	s_delay_alu instid0(VALU_DEP_1) | instskip(SKIP_1) | instid1(VALU_DEP_2)
	v_fma_f64 v[30:31], v[147:148], s[14:15], v[86:87]
	v_fma_f64 v[86:87], v[143:144], s[14:15], v[26:27]
	v_mul_f64_e32 v[26:27], s[8:9], v[30:31]
	v_mul_f64_e32 v[28:29], s[20:21], v[30:31]
	s_delay_alu instid0(VALU_DEP_2) | instskip(NEXT) | instid1(VALU_DEP_2)
	v_fma_f64 v[30:31], v[24:25], s[20:21], v[26:27]
	v_fma_f64 v[88:89], v[24:25], s[0:1], v[28:29]
	s_delay_alu instid0(VALU_DEP_2) | instskip(NEXT) | instid1(VALU_DEP_2)
	v_add_f64_e32 v[24:25], v[84:85], v[30:31]
	v_add_f64_e32 v[26:27], v[86:87], v[88:89]
	v_add_f64_e64 v[28:29], v[84:85], -v[30:31]
	v_add_f64_e64 v[30:31], v[86:87], -v[88:89]
	ds_load_b128 v[84:87], v214 offset:256
	ds_load_b128 v[88:91], v214 offset:1792
	;; [unrolled: 1-line block ×20, first 2 shown]
	global_wb scope:SCOPE_SE
	s_wait_dscnt 0x0
	s_barrier_signal -1
	s_barrier_wait -1
	global_inv scope:SCOPE_SE
	ds_store_b128 v130, v[124:127]
	ds_store_b128 v130, v[131:134] offset:80
	ds_store_b128 v130, v[135:138] offset:16
	;; [unrolled: 1-line block ×9, first 2 shown]
	v_add_f64_e32 v[24:25], v[84:85], v[88:89]
	v_add_f64_e32 v[26:27], v[86:87], v[90:91]
	;; [unrolled: 1-line block ×4, first 2 shown]
	v_add_f64_e64 v[116:117], v[90:91], -v[153:154]
	v_add_f64_e64 v[92:93], v[88:89], -v[104:105]
	;; [unrolled: 1-line block ×6, first 2 shown]
	v_add_f64_e32 v[90:91], v[104:105], v[147:148]
	v_add_f64_e32 v[110:111], v[106:107], v[149:150]
	v_add_f64_e64 v[120:121], v[106:107], -v[149:150]
	v_add_f64_e64 v[122:123], v[104:105], -v[147:148]
	v_add_f64_e64 v[112:113], v[153:154], -v[149:150]
	v_add_f64_e64 v[114:115], v[149:150], -v[153:154]
	v_add_f64_e64 v[138:139], v[195:196], -v[191:192]
	v_add_f64_e32 v[128:129], v[195:196], v[191:192]
	v_add_f64_e32 v[130:131], v[197:198], v[193:194]
	v_add_f64_e64 v[132:133], v[197:198], -v[193:194]
	v_add_f64_e64 v[134:135], v[195:196], -v[155:156]
	;; [unrolled: 1-line block ×5, first 2 shown]
	v_add_f64_e32 v[24:25], v[24:25], v[104:105]
	v_add_f64_e32 v[26:27], v[26:27], v[106:107]
	v_add_f64_e64 v[104:105], v[151:152], -v[147:148]
	v_add_f64_e64 v[106:107], v[147:148], -v[151:152]
	v_fma_f64 v[207:208], v[110:111], -0.5, v[86:87]
	v_fma_f64 v[110:111], v[30:31], -0.5, v[86:87]
	v_add_f64_e32 v[108:109], v[108:109], v[114:115]
	v_fma_f64 v[128:129], v[128:129], -0.5, v[183:184]
	v_fma_f64 v[130:131], v[130:131], -0.5, v[185:186]
	v_add_f64_e32 v[140:141], v[140:141], v[179:180]
	v_add_f64_e32 v[24:25], v[24:25], v[147:148]
	;; [unrolled: 1-line block ×4, first 2 shown]
	v_add_f64_e64 v[147:148], v[157:158], -v[197:198]
	s_delay_alu instid0(VALU_DEP_4)
	v_add_f64_e32 v[124:125], v[24:25], v[151:152]
	v_add_f64_e32 v[151:152], v[157:158], v[173:174]
	;; [unrolled: 1-line block ×5, first 2 shown]
	v_fma_f64 v[195:196], v[90:91], -0.5, v[84:85]
	v_fma_f64 v[197:198], v[28:29], -0.5, v[84:85]
	;; [unrolled: 1-line block ×3, first 2 shown]
	v_add_f64_e64 v[153:154], v[157:158], -v[173:174]
	v_fma_f64 v[151:152], v[151:152], -0.5, v[185:186]
	v_add_f64_e32 v[24:25], v[24:25], v[155:156]
	v_add_f64_e32 v[26:27], v[26:27], v[157:158]
	v_add_f64_e64 v[155:156], v[155:156], -v[171:172]
	v_add_f64_e64 v[157:158], v[191:192], -v[171:172]
	v_fma_f64 v[86:87], v[132:133], s[10:11], v[149:150]
	v_fma_f64 v[84:85], v[138:139], s[12:13], v[151:152]
	v_add_f64_e32 v[24:25], v[24:25], v[171:172]
	v_add_f64_e32 v[26:27], v[26:27], v[173:174]
	v_add_f64_e64 v[173:174], v[173:174], -v[193:194]
	v_add_f64_e32 v[134:135], v[134:135], v[157:158]
	v_fma_f64 v[86:87], v[153:154], s[8:9], v[86:87]
	v_add_f64_e64 v[171:172], v[171:172], -v[191:192]
	v_fma_f64 v[84:85], v[155:156], s[0:1], v[84:85]
	v_add_f64_e32 v[191:192], v[24:25], v[191:192]
	v_add_f64_e32 v[193:194], v[26:27], v[193:194]
	v_fma_f64 v[86:87], v[134:135], s[14:15], v[86:87]
	v_add_f64_e32 v[114:115], v[136:137], v[171:172]
	v_add_f64_e32 v[136:137], v[147:148], v[173:174]
	;; [unrolled: 3-line block ×3, first 2 shown]
	v_add_f64_e64 v[30:31], v[126:127], -v[193:194]
	v_add_f64_e32 v[126:127], v[88:89], v[112:113]
	v_add_f64_e64 v[28:29], v[124:125], -v[191:192]
	v_add_f64_e32 v[124:125], v[92:93], v[104:105]
	v_add_f64_e32 v[112:113], v[94:95], v[106:107]
	v_fma_f64 v[94:95], v[153:154], s[12:13], v[128:129]
	v_mul_f64_e32 v[88:89], s[8:9], v[84:85]
	s_delay_alu instid0(VALU_DEP_2) | instskip(NEXT) | instid1(VALU_DEP_2)
	v_fma_f64 v[94:95], v[132:133], s[8:9], v[94:95]
	v_fma_f64 v[88:89], v[86:87], s[16:17], v[88:89]
	v_mul_f64_e32 v[86:87], s[0:1], v[86:87]
	s_delay_alu instid0(VALU_DEP_3) | instskip(NEXT) | instid1(VALU_DEP_2)
	v_fma_f64 v[94:95], v[114:115], s[14:15], v[94:95]
	v_fma_f64 v[90:91], v[84:85], s[16:17], v[86:87]
	;; [unrolled: 1-line block ×4, first 2 shown]
	s_delay_alu instid0(VALU_DEP_2) | instskip(NEXT) | instid1(VALU_DEP_2)
	v_fma_f64 v[84:85], v[120:121], s[8:9], v[84:85]
	v_fma_f64 v[86:87], v[122:123], s[0:1], v[86:87]
	s_delay_alu instid0(VALU_DEP_2) | instskip(NEXT) | instid1(VALU_DEP_2)
	v_fma_f64 v[92:93], v[124:125], s[14:15], v[84:85]
	v_fma_f64 v[104:105], v[126:127], s[14:15], v[86:87]
	s_delay_alu instid0(VALU_DEP_2) | instskip(SKIP_2) | instid1(VALU_DEP_4)
	v_add_f64_e32 v[84:85], v[92:93], v[88:89]
	v_add_f64_e64 v[88:89], v[92:93], -v[88:89]
	v_fma_f64 v[92:93], v[155:156], s[10:11], v[130:131]
	v_add_f64_e32 v[86:87], v[104:105], v[90:91]
	v_add_f64_e64 v[90:91], v[104:105], -v[90:91]
	v_fma_f64 v[130:131], v[155:156], s[12:13], v[130:131]
	s_delay_alu instid0(VALU_DEP_4) | instskip(NEXT) | instid1(VALU_DEP_2)
	v_fma_f64 v[92:93], v[138:139], s[0:1], v[92:93]
	v_fma_f64 v[130:131], v[138:139], s[8:9], v[130:131]
	s_delay_alu instid0(VALU_DEP_2) | instskip(NEXT) | instid1(VALU_DEP_2)
	v_fma_f64 v[92:93], v[136:137], s[14:15], v[92:93]
	v_fma_f64 v[130:131], v[136:137], s[14:15], v[130:131]
	s_delay_alu instid0(VALU_DEP_2) | instskip(SKIP_1) | instid1(VALU_DEP_2)
	v_mul_f64_e32 v[104:105], s[10:11], v[92:93]
	v_mul_f64_e32 v[92:93], s[14:15], v[92:93]
	v_fma_f64 v[104:105], v[94:95], s[14:15], v[104:105]
	s_delay_alu instid0(VALU_DEP_2) | instskip(SKIP_3) | instid1(VALU_DEP_3)
	v_fma_f64 v[106:107], v[94:95], s[12:13], v[92:93]
	v_fma_f64 v[92:93], v[120:121], s[12:13], v[197:198]
	;; [unrolled: 1-line block ×5, first 2 shown]
	s_delay_alu instid0(VALU_DEP_3) | instskip(NEXT) | instid1(VALU_DEP_3)
	v_fma_f64 v[94:95], v[118:119], s[0:1], v[94:95]
	v_fma_f64 v[110:111], v[118:119], s[8:9], v[110:111]
	v_fma_f64 v[118:119], v[118:119], s[10:11], v[207:208]
	s_delay_alu instid0(VALU_DEP_4) | instskip(NEXT) | instid1(VALU_DEP_4)
	v_fma_f64 v[147:148], v[112:113], s[14:15], v[92:93]
	v_fma_f64 v[157:158], v[108:109], s[14:15], v[94:95]
	s_delay_alu instid0(VALU_DEP_4)
	v_fma_f64 v[136:137], v[108:109], s[14:15], v[110:111]
	v_fma_f64 v[108:109], v[153:154], s[10:11], v[128:129]
	v_mul_f64_e32 v[110:111], s[10:11], v[130:131]
	v_fma_f64 v[118:119], v[122:123], s[8:9], v[118:119]
	v_add_f64_e32 v[92:93], v[147:148], v[104:105]
	v_add_f64_e64 v[104:105], v[147:148], -v[104:105]
	v_fma_f64 v[147:148], v[120:121], s[10:11], v[197:198]
	v_fma_f64 v[108:109], v[132:133], s[0:1], v[108:109]
	v_add_f64_e32 v[94:95], v[157:158], v[106:107]
	v_fma_f64 v[126:127], v[126:127], s[14:15], v[118:119]
	v_add_f64_e64 v[106:107], v[157:158], -v[106:107]
	v_fma_f64 v[147:148], v[116:117], s[0:1], v[147:148]
	v_fma_f64 v[108:109], v[114:115], s[14:15], v[108:109]
	v_mul_f64_e32 v[114:115], s[18:19], v[130:131]
	v_fma_f64 v[116:117], v[116:117], s[12:13], v[195:196]
	v_fma_f64 v[130:131], v[132:133], s[12:13], v[149:150]
	v_add_f64_e64 v[132:133], v[201:202], -v[161:162]
	v_fma_f64 v[112:113], v[112:113], s[14:15], v[147:148]
	v_fma_f64 v[128:129], v[108:109], s[18:19], v[110:111]
	;; [unrolled: 1-line block ×5, first 2 shown]
	v_add_f64_e64 v[130:131], v[159:160], -v[175:176]
	v_add_f64_e64 v[148:149], v[201:202], -v[205:206]
	v_add_f64_e32 v[108:109], v[112:113], v[128:129]
	v_add_f64_e64 v[112:113], v[112:113], -v[128:129]
	v_fma_f64 v[128:129], v[138:139], s[10:11], v[151:152]
	v_fma_f64 v[124:125], v[124:125], s[14:15], v[116:117]
	v_fma_f64 v[116:117], v[134:135], s[14:15], v[120:121]
	v_add_f64_e32 v[110:111], v[136:137], v[114:115]
	v_add_f64_e64 v[114:115], v[136:137], -v[114:115]
	v_add_f64_e64 v[150:151], v[199:200], -v[203:204]
	;; [unrolled: 1-line block ×5, first 2 shown]
	v_fma_f64 v[128:129], v[155:156], s[8:9], v[128:129]
	s_delay_alu instid0(VALU_DEP_1) | instskip(SKIP_1) | instid1(VALU_DEP_2)
	v_fma_f64 v[122:123], v[140:141], s[14:15], v[128:129]
	v_add_f64_e64 v[140:141], v[205:206], -v[177:178]
	v_mul_f64_e32 v[118:119], s[8:9], v[122:123]
	v_mul_f64_e32 v[120:121], s[20:21], v[122:123]
	s_delay_alu instid0(VALU_DEP_3) | instskip(NEXT) | instid1(VALU_DEP_3)
	v_add_f64_e32 v[132:133], v[132:133], v[140:141]
	v_fma_f64 v[122:123], v[116:117], s[20:21], v[118:119]
	s_delay_alu instid0(VALU_DEP_3) | instskip(NEXT) | instid1(VALU_DEP_2)
	v_fma_f64 v[128:129], v[116:117], s[0:1], v[120:121]
	v_add_f64_e32 v[116:117], v[124:125], v[122:123]
	s_delay_alu instid0(VALU_DEP_2)
	v_add_f64_e32 v[118:119], v[126:127], v[128:129]
	v_add_f64_e64 v[120:121], v[124:125], -v[122:123]
	v_add_f64_e64 v[122:123], v[126:127], -v[128:129]
	ds_store_b128 v182, v[24:27]
	ds_store_b128 v182, v[84:87] offset:16
	ds_store_b128 v182, v[92:95] offset:32
	;; [unrolled: 1-line block ×9, first 2 shown]
	v_add_f64_e32 v[24:25], v[96:97], v[100:101]
	v_add_f64_e32 v[26:27], v[98:99], v[102:103]
	;; [unrolled: 1-line block ×6, first 2 shown]
	v_add_f64_e64 v[126:127], v[199:200], -v[159:160]
	v_add_f64_e64 v[128:129], v[159:160], -v[199:200]
	;; [unrolled: 1-line block ×8, first 2 shown]
	v_add_f64_e32 v[84:85], v[143:144], v[163:164]
	v_add_f64_e64 v[116:117], v[143:144], -v[163:164]
	v_add_f64_e64 v[102:103], v[167:168], -v[163:164]
	;; [unrolled: 1-line block ×4, first 2 shown]
	v_add_f64_e32 v[86:87], v[145:146], v[165:166]
	v_add_f64_e64 v[110:111], v[169:170], -v[165:166]
	v_add_f64_e64 v[106:107], v[145:146], -v[165:166]
	;; [unrolled: 1-line block ×3, first 2 shown]
	v_add_f64_e32 v[24:25], v[24:25], v[143:144]
	v_add_f64_e32 v[26:27], v[26:27], v[145:146]
	v_fma_f64 v[122:123], v[122:123], -0.5, v[189:190]
	v_add_f64_e32 v[146:147], v[201:202], v[205:206]
	v_fma_f64 v[120:121], v[120:121], -0.5, v[187:188]
	v_add_f64_e32 v[144:145], v[199:200], v[203:204]
	v_add_f64_e32 v[126:127], v[126:127], v[136:137]
	v_add_f64_e64 v[142:143], v[177:178], -v[205:206]
	v_fma_f64 v[156:157], v[84:85], -0.5, v[96:97]
	v_add_f64_e32 v[94:95], v[94:95], v[108:109]
	v_add_f64_e32 v[100:101], v[100:101], v[112:113]
	;; [unrolled: 1-line block ×4, first 2 shown]
	v_fma_f64 v[146:147], v[146:147], -0.5, v[189:190]
	v_fma_f64 v[144:145], v[144:145], -0.5, v[187:188]
	v_add_f64_e32 v[112:113], v[134:135], v[142:143]
	v_add_f64_e32 v[114:115], v[24:25], v[167:168]
	;; [unrolled: 1-line block ×5, first 2 shown]
	s_delay_alu instid0(VALU_DEP_2) | instskip(NEXT) | instid1(VALU_DEP_2)
	v_add_f64_e32 v[24:25], v[24:25], v[159:160]
	v_add_f64_e32 v[26:27], v[26:27], v[161:162]
	v_fma_f64 v[158:159], v[28:29], -0.5, v[96:97]
	v_fma_f64 v[28:29], v[150:151], s[12:13], v[122:123]
	v_fma_f64 v[162:163], v[30:31], -0.5, v[98:99]
	v_fma_f64 v[30:31], v[148:149], s[10:11], v[120:121]
	;; [unrolled: 2-line block ×3, first 2 shown]
	v_add_f64_e32 v[24:25], v[24:25], v[175:176]
	v_add_f64_e32 v[26:27], v[26:27], v[177:178]
	v_fma_f64 v[28:29], v[130:131], s[0:1], v[28:29]
	v_fma_f64 v[30:31], v[124:125], s[8:9], v[30:31]
	s_delay_alu instid0(VALU_DEP_4) | instskip(NEXT) | instid1(VALU_DEP_4)
	v_add_f64_e32 v[152:153], v[24:25], v[203:204]
	v_add_f64_e32 v[154:155], v[26:27], v[205:206]
	s_delay_alu instid0(VALU_DEP_4) | instskip(NEXT) | instid1(VALU_DEP_4)
	v_fma_f64 v[28:29], v[132:133], s[14:15], v[28:29]
	v_fma_f64 v[30:31], v[126:127], s[14:15], v[30:31]
	s_delay_alu instid0(VALU_DEP_4) | instskip(NEXT) | instid1(VALU_DEP_4)
	v_add_f64_e32 v[24:25], v[114:115], v[152:153]
	v_add_f64_e32 v[26:27], v[118:119], v[154:155]
	v_add_f64_e64 v[86:87], v[118:119], -v[154:155]
	v_add_f64_e32 v[118:119], v[88:89], v[102:103]
	v_mul_f64_e32 v[88:89], s[8:9], v[28:29]
	v_add_f64_e64 v[84:85], v[114:115], -v[152:153]
	v_add_f64_e32 v[152:153], v[90:91], v[110:111]
	v_add_f64_e32 v[102:103], v[128:129], v[138:139]
	s_delay_alu instid0(VALU_DEP_4) | instskip(SKIP_1) | instid1(VALU_DEP_1)
	v_fma_f64 v[88:89], v[30:31], s[16:17], v[88:89]
	v_mul_f64_e32 v[30:31], s[0:1], v[30:31]
	v_fma_f64 v[90:91], v[28:29], s[16:17], v[30:31]
	v_fma_f64 v[28:29], v[92:93], s[10:11], v[156:157]
	;; [unrolled: 1-line block ×3, first 2 shown]
	s_delay_alu instid0(VALU_DEP_2) | instskip(NEXT) | instid1(VALU_DEP_2)
	v_fma_f64 v[28:29], v[106:107], s[8:9], v[28:29]
	v_fma_f64 v[30:31], v[116:117], s[0:1], v[30:31]
	s_delay_alu instid0(VALU_DEP_2) | instskip(NEXT) | instid1(VALU_DEP_2)
	v_fma_f64 v[96:97], v[118:119], s[14:15], v[28:29]
	v_fma_f64 v[98:99], v[152:153], s[14:15], v[30:31]
	s_delay_alu instid0(VALU_DEP_2) | instskip(SKIP_2) | instid1(VALU_DEP_4)
	v_add_f64_e32 v[28:29], v[96:97], v[88:89]
	v_add_f64_e64 v[88:89], v[96:97], -v[88:89]
	v_fma_f64 v[96:97], v[130:131], s[10:11], v[146:147]
	v_add_f64_e32 v[30:31], v[98:99], v[90:91]
	v_add_f64_e64 v[90:91], v[98:99], -v[90:91]
	v_fma_f64 v[98:99], v[124:125], s[12:13], v[144:145]
	s_delay_alu instid0(VALU_DEP_4) | instskip(NEXT) | instid1(VALU_DEP_2)
	v_fma_f64 v[96:97], v[150:151], s[0:1], v[96:97]
	v_fma_f64 v[98:99], v[148:149], s[8:9], v[98:99]
	s_delay_alu instid0(VALU_DEP_2) | instskip(NEXT) | instid1(VALU_DEP_2)
	v_fma_f64 v[96:97], v[112:113], s[14:15], v[96:97]
	v_fma_f64 v[98:99], v[102:103], s[14:15], v[98:99]
	s_delay_alu instid0(VALU_DEP_2) | instskip(SKIP_1) | instid1(VALU_DEP_2)
	v_mul_f64_e32 v[108:109], s[10:11], v[96:97]
	v_mul_f64_e32 v[96:97], s[14:15], v[96:97]
	v_fma_f64 v[114:115], v[98:99], s[14:15], v[108:109]
	s_delay_alu instid0(VALU_DEP_2) | instskip(SKIP_2) | instid1(VALU_DEP_2)
	v_fma_f64 v[98:99], v[98:99], s[12:13], v[96:97]
	v_fma_f64 v[96:97], v[106:107], s[12:13], v[158:159]
	;; [unrolled: 1-line block ×4, first 2 shown]
	s_delay_alu instid0(VALU_DEP_2) | instskip(NEXT) | instid1(VALU_DEP_2)
	v_fma_f64 v[108:109], v[104:105], s[0:1], v[108:109]
	v_fma_f64 v[96:97], v[94:95], s[14:15], v[96:97]
	s_delay_alu instid0(VALU_DEP_2) | instskip(NEXT) | instid1(VALU_DEP_2)
	v_fma_f64 v[128:129], v[100:101], s[14:15], v[108:109]
	v_add_f64_e32 v[108:109], v[96:97], v[114:115]
	v_add_f64_e64 v[96:97], v[96:97], -v[114:115]
	v_fma_f64 v[114:115], v[130:131], s[12:13], v[146:147]
	s_delay_alu instid0(VALU_DEP_4) | instskip(SKIP_1) | instid1(VALU_DEP_3)
	v_add_f64_e32 v[110:111], v[128:129], v[98:99]
	v_add_f64_e64 v[98:99], v[128:129], -v[98:99]
	v_fma_f64 v[114:115], v[150:151], s[8:9], v[114:115]
	s_delay_alu instid0(VALU_DEP_1) | instskip(SKIP_1) | instid1(VALU_DEP_1)
	v_fma_f64 v[112:113], v[112:113], s[14:15], v[114:115]
	v_fma_f64 v[114:115], v[124:125], s[10:11], v[144:145]
	;; [unrolled: 1-line block ×3, first 2 shown]
	s_delay_alu instid0(VALU_DEP_1) | instskip(SKIP_1) | instid1(VALU_DEP_1)
	v_fma_f64 v[102:103], v[102:103], s[14:15], v[114:115]
	v_fma_f64 v[114:115], v[106:107], s[10:11], v[158:159]
	v_fma_f64 v[114:115], v[92:93], s[0:1], v[114:115]
	v_fma_f64 v[92:93], v[92:93], s[12:13], v[156:157]
	s_delay_alu instid0(VALU_DEP_2) | instskip(SKIP_1) | instid1(VALU_DEP_3)
	v_fma_f64 v[94:95], v[94:95], s[14:15], v[114:115]
	v_fma_f64 v[114:115], v[116:117], s[12:13], v[162:163]
	;; [unrolled: 1-line block ×4, first 2 shown]
	s_delay_alu instid0(VALU_DEP_3) | instskip(SKIP_1) | instid1(VALU_DEP_2)
	v_fma_f64 v[114:115], v[104:105], s[8:9], v[114:115]
	v_fma_f64 v[104:105], v[104:105], s[10:11], v[160:161]
	v_fma_f64 v[128:129], v[100:101], s[14:15], v[114:115]
	v_mul_f64_e32 v[100:101], s[10:11], v[112:113]
	v_mul_f64_e32 v[112:113], s[18:19], v[112:113]
	s_delay_alu instid0(VALU_DEP_4)
	v_fma_f64 v[104:105], v[116:117], s[8:9], v[104:105]
	v_fma_f64 v[116:117], v[118:119], s[14:15], v[92:93]
	;; [unrolled: 1-line block ×6, first 2 shown]
	s_delay_alu instid0(VALU_DEP_3) | instskip(SKIP_4) | instid1(VALU_DEP_3)
	v_add_f64_e32 v[112:113], v[94:95], v[100:101]
	v_add_f64_e64 v[100:101], v[94:95], -v[100:101]
	v_fma_f64 v[94:95], v[150:151], s[10:11], v[122:123]
	v_add_f64_e32 v[114:115], v[128:129], v[102:103]
	v_add_f64_e64 v[102:103], v[128:129], -v[102:103]
	v_fma_f64 v[94:95], v[130:131], s[8:9], v[94:95]
	s_delay_alu instid0(VALU_DEP_1) | instskip(NEXT) | instid1(VALU_DEP_1)
	v_fma_f64 v[94:95], v[132:133], s[14:15], v[94:95]
	v_mul_f64_e32 v[104:105], s[8:9], v[94:95]
	v_mul_f64_e32 v[94:95], s[20:21], v[94:95]
	s_delay_alu instid0(VALU_DEP_2) | instskip(NEXT) | instid1(VALU_DEP_2)
	v_fma_f64 v[104:105], v[92:93], s[20:21], v[104:105]
	v_fma_f64 v[118:119], v[92:93], s[0:1], v[94:95]
	s_delay_alu instid0(VALU_DEP_2) | instskip(NEXT) | instid1(VALU_DEP_2)
	v_add_f64_e32 v[92:93], v[116:117], v[104:105]
	v_add_f64_e32 v[94:95], v[106:107], v[118:119]
	v_add_f64_e64 v[104:105], v[116:117], -v[104:105]
	v_add_f64_e64 v[106:107], v[106:107], -v[118:119]
	ds_store_b128 v181, v[24:27]
	ds_store_b128 v181, v[28:31] offset:16
	ds_store_b128 v181, v[108:111] offset:32
	;; [unrolled: 1-line block ×9, first 2 shown]
	global_wb scope:SCOPE_SE
	s_wait_dscnt 0x0
	s_barrier_signal -1
	s_barrier_wait -1
	global_inv scope:SCOPE_SE
	ds_load_b128 v[116:119], v247
	ds_load_b128 v[108:111], v214 offset:256
	ds_load_b128 v[184:187], v214 offset:1920
	;; [unrolled: 1-line block ×23, first 2 shown]
	s_and_saveexec_b32 s0, vcc_lo
	s_cbranch_execz .LBB0_7
; %bb.6:
	ds_load_b128 v[92:95], v214 offset:768
	ds_load_b128 v[84:87], v214 offset:1728
	;; [unrolled: 1-line block ×7, first 2 shown]
	s_wait_dscnt 0x0
	scratch_store_b128 off, v[196:199], off offset:24 ; 16-byte Folded Spill
	ds_load_b128 v[196:199], v214 offset:7488
	s_wait_dscnt 0x0
	scratch_store_b128 off, v[196:199], off offset:8 ; 16-byte Folded Spill
.LBB0_7:
	s_wait_alu 0xfffe
	s_or_b32 exec_lo, exec_lo, s0
	scratch_load_b128 v[198:201], off, off offset:536 th:TH_LOAD_LU ; 16-byte Folded Reload
	s_mov_b32 s8, 0x667f3bcd
	s_mov_b32 s9, 0xbfe6a09e
	;; [unrolled: 1-line block ×3, first 2 shown]
	s_wait_alu 0xfffe
	s_mov_b32 s0, s8
	s_wait_loadcnt_dscnt 0xf
	v_mul_f64_e32 v[196:197], v[200:201], v[194:195]
	s_delay_alu instid0(VALU_DEP_1) | instskip(SKIP_1) | instid1(VALU_DEP_1)
	v_fma_f64 v[196:197], v[198:199], v[192:193], v[196:197]
	v_mul_f64_e32 v[192:193], v[200:201], v[192:193]
	v_fma_f64 v[192:193], v[198:199], v[194:195], -v[192:193]
	scratch_load_b128 v[198:201], off, off offset:600 th:TH_LOAD_LU ; 16-byte Folded Reload
	s_wait_loadcnt 0x0
	v_mul_f64_e32 v[194:195], v[200:201], v[186:187]
	s_delay_alu instid0(VALU_DEP_1) | instskip(SKIP_1) | instid1(VALU_DEP_1)
	v_fma_f64 v[194:195], v[198:199], v[184:185], v[194:195]
	v_mul_f64_e32 v[184:185], v[200:201], v[184:185]
	v_fma_f64 v[184:185], v[198:199], v[186:187], -v[184:185]
	scratch_load_b128 v[198:201], off, off offset:552 th:TH_LOAD_LU ; 16-byte Folded Reload
	s_wait_loadcnt_dscnt 0xb
	v_mul_f64_e32 v[186:187], v[200:201], v[190:191]
	s_delay_alu instid0(VALU_DEP_1) | instskip(SKIP_1) | instid1(VALU_DEP_1)
	v_fma_f64 v[186:187], v[198:199], v[188:189], v[186:187]
	v_mul_f64_e32 v[188:189], v[200:201], v[188:189]
	v_fma_f64 v[188:189], v[198:199], v[190:191], -v[188:189]
	scratch_load_b128 v[198:201], off, off offset:568 th:TH_LOAD_LU ; 16-byte Folded Reload
	s_wait_loadcnt 0x0
	v_mul_f64_e32 v[190:191], v[200:201], v[174:175]
	s_delay_alu instid0(VALU_DEP_1) | instskip(SKIP_1) | instid1(VALU_DEP_1)
	v_fma_f64 v[190:191], v[198:199], v[172:173], v[190:191]
	v_mul_f64_e32 v[172:173], v[200:201], v[172:173]
	v_fma_f64 v[172:173], v[198:199], v[174:175], -v[172:173]
	scratch_load_b128 v[198:201], off, off offset:584 th:TH_LOAD_LU ; 16-byte Folded Reload
	v_add_f64_e64 v[172:173], v[118:119], -v[172:173]
	s_delay_alu instid0(VALU_DEP_1) | instskip(SKIP_2) | instid1(VALU_DEP_1)
	v_fma_f64 v[118:119], v[118:119], 2.0, -v[172:173]
	s_wait_loadcnt_dscnt 0x7
	v_mul_f64_e32 v[174:175], v[200:201], v[182:183]
	v_fma_f64 v[174:175], v[198:199], v[180:181], v[174:175]
	v_mul_f64_e32 v[180:181], v[200:201], v[180:181]
	s_delay_alu instid0(VALU_DEP_2) | instskip(NEXT) | instid1(VALU_DEP_2)
	v_add_f64_e64 v[174:175], v[196:197], -v[174:175]
	v_fma_f64 v[180:181], v[198:199], v[182:183], -v[180:181]
	scratch_load_b128 v[198:201], off, off offset:616 th:TH_LOAD_LU ; 16-byte Folded Reload
	v_fma_f64 v[196:197], v[196:197], 2.0, -v[174:175]
	v_add_f64_e64 v[180:181], v[192:193], -v[180:181]
	s_delay_alu instid0(VALU_DEP_1) | instskip(SKIP_2) | instid1(VALU_DEP_1)
	v_fma_f64 v[192:193], v[192:193], 2.0, -v[180:181]
	s_wait_loadcnt 0x0
	v_mul_f64_e32 v[182:183], v[200:201], v[170:171]
	v_fma_f64 v[182:183], v[198:199], v[168:169], v[182:183]
	v_mul_f64_e32 v[168:169], v[200:201], v[168:169]
	s_delay_alu instid0(VALU_DEP_2) | instskip(NEXT) | instid1(VALU_DEP_2)
	v_add_f64_e64 v[182:183], v[194:195], -v[182:183]
	v_fma_f64 v[168:169], v[198:199], v[170:171], -v[168:169]
	scratch_load_b128 v[198:201], off, off offset:632 th:TH_LOAD_LU ; 16-byte Folded Reload
	v_add_f64_e64 v[168:169], v[184:185], -v[168:169]
	s_wait_loadcnt_dscnt 0x3
	v_mul_f64_e32 v[170:171], v[200:201], v[178:179]
	s_delay_alu instid0(VALU_DEP_1) | instskip(SKIP_1) | instid1(VALU_DEP_2)
	v_fma_f64 v[170:171], v[198:199], v[176:177], v[170:171]
	v_mul_f64_e32 v[176:177], v[200:201], v[176:177]
	v_add_f64_e64 v[170:171], v[186:187], -v[170:171]
	s_delay_alu instid0(VALU_DEP_2) | instskip(SKIP_4) | instid1(VALU_DEP_1)
	v_fma_f64 v[176:177], v[198:199], v[178:179], -v[176:177]
	scratch_load_b128 v[198:201], off, off offset:648 th:TH_LOAD_LU ; 16-byte Folded Reload
	v_add_f64_e64 v[176:177], v[188:189], -v[176:177]
	s_wait_loadcnt 0x0
	v_mul_f64_e32 v[178:179], v[200:201], v[166:167]
	v_fma_f64 v[178:179], v[198:199], v[164:165], v[178:179]
	v_mul_f64_e32 v[164:165], v[200:201], v[164:165]
	s_delay_alu instid0(VALU_DEP_1) | instskip(SKIP_3) | instid1(VALU_DEP_1)
	v_fma_f64 v[164:165], v[198:199], v[166:167], -v[164:165]
	scratch_load_b128 v[198:201], off, off offset:664 th:TH_LOAD_LU ; 16-byte Folded Reload
	s_wait_loadcnt 0x0
	v_mul_f64_e32 v[166:167], v[200:201], v[150:151]
	v_fma_f64 v[166:167], v[198:199], v[148:149], v[166:167]
	v_mul_f64_e32 v[148:149], v[200:201], v[148:149]
	s_delay_alu instid0(VALU_DEP_1) | instskip(SKIP_3) | instid1(VALU_DEP_1)
	v_fma_f64 v[148:149], v[198:199], v[150:151], -v[148:149]
	scratch_load_b128 v[198:201], off, off offset:680 th:TH_LOAD_LU ; 16-byte Folded Reload
	;; [unrolled: 7-line block ×3, first 2 shown]
	s_wait_loadcnt 0x0
	v_mul_f64_e32 v[162:163], v[200:201], v[30:31]
	v_fma_f64 v[162:163], v[198:199], v[28:29], v[162:163]
	v_mul_f64_e32 v[28:29], v[200:201], v[28:29]
	s_delay_alu instid0(VALU_DEP_2) | instskip(NEXT) | instid1(VALU_DEP_2)
	v_add_f64_e64 v[162:163], v[108:109], -v[162:163]
	v_fma_f64 v[28:29], v[198:199], v[30:31], -v[28:29]
	scratch_load_b128 v[198:201], off, off offset:744 th:TH_LOAD_LU ; 16-byte Folded Reload
	v_fma_f64 v[108:109], v[108:109], 2.0, -v[162:163]
	v_add_f64_e64 v[28:29], v[110:111], -v[28:29]
	s_delay_alu instid0(VALU_DEP_1) | instskip(SKIP_2) | instid1(VALU_DEP_1)
	v_fma_f64 v[110:111], v[110:111], 2.0, -v[28:29]
	s_wait_loadcnt 0x0
	v_mul_f64_e32 v[30:31], v[200:201], v[26:27]
	v_fma_f64 v[30:31], v[198:199], v[24:25], v[30:31]
	v_mul_f64_e32 v[24:25], v[200:201], v[24:25]
	s_delay_alu instid0(VALU_DEP_2) | instskip(NEXT) | instid1(VALU_DEP_2)
	v_add_f64_e64 v[30:31], v[166:167], -v[30:31]
	v_fma_f64 v[24:25], v[198:199], v[26:27], -v[24:25]
	scratch_load_b128 v[198:201], off, off offset:696 th:TH_LOAD_LU ; 16-byte Folded Reload
	v_add_f64_e64 v[24:25], v[148:149], -v[24:25]
	s_delay_alu instid0(VALU_DEP_1) | instskip(SKIP_3) | instid1(VALU_DEP_1)
	v_add_f64_e32 v[204:205], v[162:163], v[24:25]
	v_fma_f64 v[24:25], v[148:149], 2.0, -v[24:25]
	s_wait_loadcnt 0x0
	v_mul_f64_e32 v[26:27], v[200:201], v[154:155]
	v_fma_f64 v[26:27], v[198:199], v[152:153], v[26:27]
	v_mul_f64_e32 v[152:153], v[200:201], v[152:153]
	s_delay_alu instid0(VALU_DEP_2) | instskip(NEXT) | instid1(VALU_DEP_2)
	v_add_f64_e64 v[26:27], v[178:179], -v[26:27]
	v_fma_f64 v[152:153], v[198:199], v[154:155], -v[152:153]
	scratch_load_b128 v[198:201], off, off offset:728 th:TH_LOAD_LU ; 16-byte Folded Reload
	v_fma_f64 v[148:149], v[178:179], 2.0, -v[26:27]
	v_add_f64_e64 v[152:153], v[164:165], -v[152:153]
	s_delay_alu instid0(VALU_DEP_1) | instskip(SKIP_2) | instid1(VALU_DEP_1)
	v_fma_f64 v[164:165], v[164:165], 2.0, -v[152:153]
	s_wait_loadcnt_dscnt 0x1
	v_mul_f64_e32 v[154:155], v[200:201], v[158:159]
	v_fma_f64 v[154:155], v[198:199], v[156:157], v[154:155]
	v_mul_f64_e32 v[156:157], v[200:201], v[156:157]
	s_delay_alu instid0(VALU_DEP_2) | instskip(NEXT) | instid1(VALU_DEP_2)
	v_add_f64_e64 v[154:155], v[150:151], -v[154:155]
	v_fma_f64 v[156:157], v[198:199], v[158:159], -v[156:157]
	scratch_load_b128 v[198:201], off, off offset:760 th:TH_LOAD_LU ; 16-byte Folded Reload
	v_fma_f64 v[150:151], v[150:151], 2.0, -v[154:155]
	v_add_f64_e64 v[156:157], v[160:161], -v[156:157]
	s_delay_alu instid0(VALU_DEP_2) | instskip(NEXT) | instid1(VALU_DEP_1)
	v_add_f64_e64 v[150:151], v[148:149], -v[150:151]
	v_fma_f64 v[148:149], v[148:149], 2.0, -v[150:151]
	s_wait_loadcnt 0x0
	v_mul_f64_e32 v[158:159], v[200:201], v[146:147]
	s_delay_alu instid0(VALU_DEP_1) | instskip(SKIP_1) | instid1(VALU_DEP_1)
	v_fma_f64 v[158:159], v[198:199], v[144:145], v[158:159]
	v_mul_f64_e32 v[144:145], v[200:201], v[144:145]
	v_fma_f64 v[144:145], v[198:199], v[146:147], -v[144:145]
	scratch_load_b128 v[198:201], off, off offset:792 th:TH_LOAD_LU ; 16-byte Folded Reload
	s_wait_loadcnt 0x0
	v_mul_f64_e32 v[146:147], v[200:201], v[134:135]
	s_delay_alu instid0(VALU_DEP_1) | instskip(SKIP_1) | instid1(VALU_DEP_1)
	v_fma_f64 v[146:147], v[198:199], v[132:133], v[146:147]
	v_mul_f64_e32 v[132:133], v[200:201], v[132:133]
	v_fma_f64 v[132:133], v[198:199], v[134:135], -v[132:133]
	scratch_load_b128 v[198:201], off, off offset:824 th:TH_LOAD_LU ; 16-byte Folded Reload
	s_wait_loadcnt 0x0
	v_mul_f64_e32 v[134:135], v[200:201], v[138:139]
	s_delay_alu instid0(VALU_DEP_1) | instskip(SKIP_1) | instid1(VALU_DEP_2)
	v_fma_f64 v[134:135], v[198:199], v[136:137], v[134:135]
	v_mul_f64_e32 v[136:137], v[200:201], v[136:137]
	v_add_f64_e64 v[134:135], v[112:113], -v[134:135]
	s_delay_alu instid0(VALU_DEP_2) | instskip(SKIP_3) | instid1(VALU_DEP_1)
	v_fma_f64 v[136:137], v[198:199], v[138:139], -v[136:137]
	scratch_load_b128 v[198:201], off, off offset:856 th:TH_LOAD_LU ; 16-byte Folded Reload
	v_fma_f64 v[112:113], v[112:113], 2.0, -v[134:135]
	v_add_f64_e64 v[136:137], v[114:115], -v[136:137]
	v_fma_f64 v[114:115], v[114:115], 2.0, -v[136:137]
	s_wait_loadcnt 0x0
	v_mul_f64_e32 v[138:139], v[200:201], v[142:143]
	s_delay_alu instid0(VALU_DEP_1) | instskip(SKIP_1) | instid1(VALU_DEP_2)
	v_fma_f64 v[138:139], v[198:199], v[140:141], v[138:139]
	v_mul_f64_e32 v[140:141], v[200:201], v[140:141]
	v_add_f64_e64 v[138:139], v[146:147], -v[138:139]
	s_delay_alu instid0(VALU_DEP_2) | instskip(SKIP_4) | instid1(VALU_DEP_3)
	v_fma_f64 v[140:141], v[198:199], v[142:143], -v[140:141]
	scratch_load_b128 v[198:201], off, off offset:808 th:TH_LOAD_LU ; 16-byte Folded Reload
	v_fma_f64 v[146:147], v[146:147], 2.0, -v[138:139]
	v_add_f64_e64 v[140:141], v[132:133], -v[140:141]
	v_add_f64_e64 v[208:209], v[136:137], -v[138:139]
	;; [unrolled: 1-line block ×3, first 2 shown]
	s_delay_alu instid0(VALU_DEP_3) | instskip(SKIP_1) | instid1(VALU_DEP_4)
	v_fma_f64 v[132:133], v[132:133], 2.0, -v[140:141]
	v_add_f64_e32 v[206:207], v[134:135], v[140:141]
	v_fma_f64 v[217:218], v[136:137], 2.0, -v[208:209]
	s_delay_alu instid0(VALU_DEP_3) | instskip(NEXT) | instid1(VALU_DEP_3)
	v_add_f64_e64 v[212:213], v[114:115], -v[132:133]
	v_fma_f64 v[215:216], v[134:135], 2.0, -v[206:207]
	s_wait_loadcnt 0x0
	v_mul_f64_e32 v[142:143], v[200:201], v[130:131]
	s_delay_alu instid0(VALU_DEP_1) | instskip(SKIP_1) | instid1(VALU_DEP_2)
	v_fma_f64 v[142:143], v[198:199], v[128:129], v[142:143]
	v_mul_f64_e32 v[128:129], v[200:201], v[128:129]
	v_add_f64_e64 v[142:143], v[158:159], -v[142:143]
	s_delay_alu instid0(VALU_DEP_2) | instskip(SKIP_2) | instid1(VALU_DEP_1)
	v_fma_f64 v[128:129], v[198:199], v[130:131], -v[128:129]
	scratch_load_b128 v[198:201], off, off offset:776 th:TH_LOAD_LU ; 16-byte Folded Reload
	v_add_f64_e64 v[128:129], v[144:145], -v[128:129]
	v_fma_f64 v[144:145], v[144:145], 2.0, -v[128:129]
	s_wait_loadcnt 0x0
	v_mul_f64_e32 v[130:131], v[200:201], v[122:123]
	s_delay_alu instid0(VALU_DEP_1)
	v_fma_f64 v[130:131], v[198:199], v[120:121], v[130:131]
	v_mul_f64_e32 v[120:121], v[200:201], v[120:121]
	scratch_load_b128 v[200:203], off, off offset:840 th:TH_LOAD_LU ; 16-byte Folded Reload
	global_wb scope:SCOPE_SE
	s_wait_storecnt 0x0
	s_wait_loadcnt_dscnt 0x0
	s_barrier_signal -1
	s_barrier_wait -1
	global_inv scope:SCOPE_SE
	v_fma_f64 v[120:121], v[198:199], v[122:123], -v[120:121]
	v_mul_f64_e32 v[122:123], v[202:203], v[126:127]
	v_mul_f64_e32 v[198:199], v[202:203], v[124:125]
	v_add_f64_e64 v[202:203], v[180:181], -v[170:171]
	v_fma_f64 v[170:171], v[186:187], 2.0, -v[170:171]
	v_add_f64_e64 v[186:187], v[152:153], -v[154:155]
	v_fma_f64 v[154:155], v[160:161], 2.0, -v[156:157]
	v_fma_f64 v[122:123], v[200:201], v[124:125], v[122:123]
	v_fma_f64 v[124:125], v[200:201], v[126:127], -v[198:199]
	v_add_f64_e64 v[126:127], v[116:117], -v[190:191]
	v_add_f64_e64 v[198:199], v[172:173], -v[182:183]
	v_add_f64_e32 v[200:201], v[174:175], v[176:177]
	v_fma_f64 v[182:183], v[194:195], 2.0, -v[182:183]
	v_add_f64_e32 v[194:195], v[26:27], v[156:157]
	v_fma_f64 v[176:177], v[188:189], 2.0, -v[176:177]
	v_fma_f64 v[156:157], v[158:159], 2.0, -v[142:143]
	v_add_f64_e64 v[170:171], v[196:197], -v[170:171]
	v_fma_f64 v[152:153], v[152:153], 2.0, -v[186:187]
	v_add_f64_e64 v[188:189], v[110:111], -v[24:25]
	v_add_f64_e64 v[154:155], v[164:165], -v[154:155]
	v_add_f64_e64 v[122:123], v[130:131], -v[122:123]
	v_add_f64_e64 v[124:125], v[120:121], -v[124:125]
	v_add_f64_e32 v[190:191], v[126:127], v[168:169]
	v_fma_f64 v[168:169], v[184:185], 2.0, -v[168:169]
	v_add_f64_e64 v[184:185], v[28:29], -v[30:31]
	v_fma_f64 v[116:117], v[116:117], 2.0, -v[126:127]
	v_fma_f64 v[30:31], v[166:167], 2.0, -v[30:31]
	;; [unrolled: 1-line block ×3, first 2 shown]
	s_wait_alu 0xfffe
	v_fma_f64 v[138:139], v[202:203], s[0:1], v[198:199]
	v_add_f64_e64 v[176:177], v[192:193], -v[176:177]
	v_fma_f64 v[140:141], v[26:27], 2.0, -v[194:195]
	v_fma_f64 v[136:137], v[196:197], 2.0, -v[170:171]
	;; [unrolled: 1-line block ×5, first 2 shown]
	v_add_f64_e32 v[158:159], v[142:143], v[124:125]
	v_fma_f64 v[166:167], v[126:127], 2.0, -v[190:191]
	v_fma_f64 v[124:125], v[180:181], 2.0, -v[202:203]
	v_fma_f64 v[126:127], v[200:201], s[0:1], v[190:191]
	v_fma_f64 v[178:179], v[28:29], 2.0, -v[184:185]
	v_fma_f64 v[28:29], v[194:195], s[0:1], v[204:205]
	v_add_f64_e64 v[168:169], v[118:119], -v[168:169]
	v_add_f64_e64 v[160:161], v[128:129], -v[122:123]
	v_fma_f64 v[122:123], v[174:175], 2.0, -v[200:201]
	v_fma_f64 v[174:175], v[162:163], 2.0, -v[204:205]
	v_fma_f64 v[162:163], v[186:187], s[0:1], v[184:185]
	v_fma_f64 v[26:27], v[200:201], s[8:9], v[138:139]
	v_fma_f64 v[138:139], v[192:193], 2.0, -v[176:177]
	v_add_f64_e64 v[180:181], v[116:117], -v[182:183]
	v_add_f64_e64 v[182:183], v[108:109], -v[30:31]
	v_fma_f64 v[200:201], v[112:113], 2.0, -v[210:211]
	v_add_f64_e64 v[134:135], v[156:157], -v[130:131]
	v_add_f64_e64 v[132:133], v[144:145], -v[120:121]
	v_fma_f64 v[196:197], v[158:159], s[0:1], v[206:207]
	v_fma_f64 v[142:143], v[142:143], 2.0, -v[158:159]
	v_fma_f64 v[24:25], v[202:203], s[0:1], v[126:127]
	v_fma_f64 v[126:127], v[124:125], s[8:9], v[172:173]
	;; [unrolled: 1-line block ×3, first 2 shown]
	v_fma_f64 v[186:187], v[118:119], 2.0, -v[168:169]
	v_fma_f64 v[202:203], v[114:115], 2.0, -v[212:213]
	;; [unrolled: 1-line block ×3, first 2 shown]
	v_fma_f64 v[128:129], v[140:141], s[8:9], v[174:175]
	v_fma_f64 v[30:31], v[194:195], s[8:9], v[162:163]
	v_fma_f64 v[194:195], v[110:111], 2.0, -v[188:189]
	v_fma_f64 v[120:121], v[122:123], s[8:9], v[166:167]
	v_fma_f64 v[162:163], v[116:117], 2.0, -v[180:181]
	v_fma_f64 v[192:193], v[108:109], 2.0, -v[182:183]
	v_add_f64_e32 v[116:117], v[180:181], v[176:177]
	v_add_f64_e64 v[118:119], v[168:169], -v[170:171]
	v_fma_f64 v[130:131], v[152:153], s[8:9], v[178:179]
	v_fma_f64 v[156:157], v[156:157], 2.0, -v[134:135]
	v_fma_f64 v[144:145], v[144:145], 2.0, -v[132:133]
	v_add_f64_e32 v[132:133], v[210:211], v[132:133]
	v_fma_f64 v[219:220], v[142:143], s[8:9], v[215:216]
	v_add_f64_e64 v[134:135], v[212:213], -v[134:135]
	v_fma_f64 v[110:111], v[122:123], s[8:9], v[126:127]
	v_add_f64_e64 v[122:123], v[188:189], -v[150:151]
	v_add_f64_e64 v[126:127], v[186:187], -v[138:139]
	v_fma_f64 v[176:177], v[204:205], 2.0, -v[28:29]
	v_fma_f64 v[221:222], v[146:147], s[8:9], v[217:218]
	v_fma_f64 v[112:113], v[152:153], s[0:1], v[128:129]
	;; [unrolled: 1-line block ×4, first 2 shown]
	v_add_f64_e64 v[124:125], v[162:163], -v[136:137]
	v_add_f64_e64 v[128:129], v[192:193], -v[148:149]
	v_fma_f64 v[148:149], v[180:181], 2.0, -v[116:117]
	v_fma_f64 v[150:151], v[168:169], 2.0, -v[118:119]
	v_fma_f64 v[114:115], v[140:141], s[8:9], v[130:131]
	v_add_f64_e32 v[120:121], v[182:183], v[154:155]
	v_fma_f64 v[154:155], v[198:199], 2.0, -v[26:27]
	v_add_f64_e64 v[130:131], v[194:195], -v[164:165]
	v_add_f64_e64 v[136:137], v[200:201], -v[156:157]
	;; [unrolled: 1-line block ×3, first 2 shown]
	v_fma_f64 v[144:145], v[160:161], s[0:1], v[196:197]
	scratch_load_b32 v196, off, off offset:876 th:TH_LOAD_LU ; 4-byte Folded Reload
	v_fma_f64 v[140:141], v[146:147], s[0:1], v[219:220]
	v_fma_f64 v[180:181], v[210:211], 2.0, -v[132:133]
	v_fma_f64 v[142:143], v[142:143], s[8:9], v[221:222]
	v_fma_f64 v[146:147], v[158:159], s[8:9], v[152:153]
	v_fma_f64 v[152:153], v[190:191], 2.0, -v[24:25]
	v_fma_f64 v[164:165], v[166:167], 2.0, -v[108:109]
	;; [unrolled: 1-line block ×13, first 2 shown]
	s_wait_loadcnt 0x0
	ds_store_b128 v196, v[116:119] offset:960
	ds_store_b128 v196, v[24:27] offset:1120
	;; [unrolled: 1-line block ×6, first 2 shown]
	ds_store_b128 v196, v[160:163]
	ds_store_b128 v196, v[164:167] offset:160
	scratch_load_b32 v24, off, off offset:944 th:TH_LOAD_LU ; 4-byte Folded Reload
	v_fma_f64 v[184:185], v[200:201], 2.0, -v[136:137]
	v_fma_f64 v[186:187], v[202:203], 2.0, -v[138:139]
	;; [unrolled: 1-line block ×6, first 2 shown]
	s_wait_loadcnt 0x0
	ds_store_b128 v24, v[168:171]
	ds_store_b128 v24, v[172:175] offset:160
	ds_store_b128 v24, v[156:159] offset:320
	;; [unrolled: 1-line block ×7, first 2 shown]
	scratch_load_b32 v24, off, off offset:948 th:TH_LOAD_LU ; 4-byte Folded Reload
	s_wait_loadcnt 0x0
	ds_store_b128 v24, v[184:187]
	ds_store_b128 v24, v[188:191] offset:160
	ds_store_b128 v24, v[180:183] offset:320
	;; [unrolled: 1-line block ×7, first 2 shown]
	s_and_saveexec_b32 s10, vcc_lo
	s_cbranch_execz .LBB0_9
; %bb.8:
	s_clause 0x8
	scratch_load_b128 v[140:143], off, off offset:1008 th:TH_LOAD_LU
	scratch_load_b128 v[132:135], off, off offset:976 th:TH_LOAD_LU
	;; [unrolled: 1-line block ×9, first 2 shown]
	s_wait_loadcnt 0x8
	v_mul_f64_e32 v[24:25], v[142:143], v[100:101]
	s_wait_loadcnt 0x7
	v_mul_f64_e32 v[26:27], v[134:135], v[90:91]
	s_wait_loadcnt 0x5
	v_mul_f64_e32 v[28:29], v[150:151], v[162:163]
	s_wait_loadcnt 0x4
	v_mul_f64_e32 v[30:31], v[130:131], v[84:85]
	s_wait_loadcnt 0x3
	v_mul_f64_e32 v[110:111], v[138:139], v[98:99]
	s_wait_loadcnt 0x2
	v_mul_f64_e32 v[108:109], v[146:147], v[104:105]
	s_wait_loadcnt 0x0
	v_mul_f64_e32 v[112:113], v[154:155], v[158:159]
	v_mul_f64_e32 v[116:117], v[134:135], v[88:89]
	v_mul_f64_e32 v[118:119], v[150:151], v[160:161]
	;; [unrolled: 1-line block ×7, first 2 shown]
	v_fma_f64 v[24:25], v[140:141], v[102:103], -v[24:25]
	v_fma_f64 v[26:27], v[132:133], v[88:89], v[26:27]
	v_fma_f64 v[28:29], v[148:149], v[160:161], v[28:29]
	v_fma_f64 v[30:31], v[128:129], v[86:87], -v[30:31]
	v_fma_f64 v[88:89], v[136:137], v[96:97], v[110:111]
	v_fma_f64 v[86:87], v[144:145], v[106:107], -v[108:109]
	;; [unrolled: 2-line block ×3, first 2 shown]
	v_fma_f64 v[102:103], v[148:149], v[162:163], -v[118:119]
	v_fma_f64 v[100:101], v[140:141], v[100:101], v[122:123]
	v_fma_f64 v[98:99], v[136:137], v[98:99], -v[124:125]
	v_fma_f64 v[106:107], v[152:153], v[158:159], -v[126:127]
	v_fma_f64 v[84:85], v[128:129], v[84:85], v[114:115]
	v_fma_f64 v[104:105], v[144:145], v[104:105], v[120:121]
	v_add_f64_e64 v[24:25], v[94:95], -v[24:25]
	v_add_f64_e64 v[28:29], v[26:27], -v[28:29]
	;; [unrolled: 1-line block ×8, first 2 shown]
	v_fma_f64 v[94:95], v[94:95], 2.0, -v[24:25]
	v_add_f64_e64 v[108:109], v[24:25], -v[28:29]
	v_fma_f64 v[26:27], v[26:27], 2.0, -v[28:29]
	v_fma_f64 v[30:31], v[30:31], 2.0, -v[86:87]
	v_add_f64_e64 v[110:111], v[86:87], -v[96:97]
	v_fma_f64 v[88:89], v[88:89], 2.0, -v[96:97]
	v_fma_f64 v[90:91], v[90:91], 2.0, -v[102:103]
	;; [unrolled: 1-line block ×3, first 2 shown]
	v_add_f64_e32 v[102:103], v[102:103], v[100:101]
	v_fma_f64 v[96:97], v[98:99], 2.0, -v[106:107]
	v_fma_f64 v[84:85], v[84:85], 2.0, -v[104:105]
	v_add_f64_e32 v[28:29], v[106:107], v[104:105]
	v_fma_f64 v[106:107], v[24:25], 2.0, -v[108:109]
	v_fma_f64 v[112:113], v[86:87], 2.0, -v[110:111]
	v_add_f64_e64 v[98:99], v[94:95], -v[90:91]
	v_fma_f64 v[100:101], v[100:101], 2.0, -v[102:103]
	v_add_f64_e64 v[86:87], v[30:31], -v[96:97]
	v_add_f64_e64 v[96:97], v[92:93], -v[26:27]
	v_fma_f64 v[26:27], v[110:111], s[0:1], v[108:109]
	v_add_f64_e64 v[24:25], v[84:85], -v[88:89]
	v_fma_f64 v[90:91], v[28:29], s[0:1], v[102:103]
	v_fma_f64 v[88:89], v[104:105], 2.0, -v[28:29]
	v_fma_f64 v[104:105], v[112:113], s[8:9], v[106:107]
	v_fma_f64 v[114:115], v[94:95], 2.0, -v[98:99]
	v_fma_f64 v[94:95], v[30:31], 2.0, -v[86:87]
	v_fma_f64 v[116:117], v[92:93], 2.0, -v[96:97]
	v_fma_f64 v[26:27], v[28:29], s[8:9], v[26:27]
	v_fma_f64 v[84:85], v[84:85], 2.0, -v[24:25]
	v_add_f64_e64 v[30:31], v[98:99], -v[24:25]
	v_fma_f64 v[24:25], v[110:111], s[0:1], v[90:91]
	v_fma_f64 v[92:93], v[88:89], s[8:9], v[100:101]
	v_add_f64_e32 v[28:29], v[96:97], v[86:87]
	v_fma_f64 v[86:87], v[88:89], s[8:9], v[104:105]
	v_add_f64_e64 v[90:91], v[114:115], -v[94:95]
	v_fma_f64 v[94:95], v[108:109], 2.0, -v[26:27]
	s_clause 0x1
	scratch_load_b32 v108, off, off offset:872 th:TH_LOAD_LU
	scratch_load_b32 v109, off, off offset:528 th:TH_LOAD_LU
	v_add_f64_e64 v[88:89], v[116:117], -v[84:85]
	v_fma_f64 v[84:85], v[112:113], s[0:1], v[92:93]
	v_fma_f64 v[98:99], v[98:99], 2.0, -v[30:31]
	v_fma_f64 v[96:97], v[96:97], 2.0, -v[28:29]
	;; [unrolled: 1-line block ×7, first 2 shown]
	s_wait_loadcnt 0x1
	v_mul_u32_u24_e32 v108, 0x50, v108
	s_wait_loadcnt 0x0
	s_delay_alu instid0(VALU_DEP_1)
	v_or_b32_e32 v108, v108, v109
	scratch_load_b32 v109, off, off th:TH_LOAD_LU ; 4-byte Folded Reload
	s_wait_loadcnt 0x0
	v_add_lshl_u32 v108, v109, v108, 4
	ds_store_b128 v108, v[28:31] offset:960
	ds_store_b128 v108, v[96:99] offset:320
	;; [unrolled: 1-line block ×5, first 2 shown]
	ds_store_b128 v108, v[104:107]
	ds_store_b128 v108, v[100:103] offset:160
	ds_store_b128 v108, v[24:27] offset:1120
.LBB0_9:
	s_wait_alu 0xfffe
	s_or_b32 exec_lo, exec_lo, s10
	global_wb scope:SCOPE_SE
	s_wait_dscnt 0x0
	s_barrier_signal -1
	s_barrier_wait -1
	global_inv scope:SCOPE_SE
	ds_load_b128 v[28:31], v214 offset:1280
	ds_load_b128 v[24:27], v214 offset:1024
	scratch_load_b128 v[100:103], off, off offset:928 th:TH_LOAD_LU ; 16-byte Folded Reload
	ds_load_b128 v[84:87], v214 offset:2560
	ds_load_b128 v[88:91], v214 offset:2816
	s_mov_b32 s8, 0xe8584caa
	s_mov_b32 s9, 0xbfebb67a
	;; [unrolled: 1-line block ×3, first 2 shown]
	s_wait_alu 0xfffe
	s_mov_b32 s0, s8
	s_wait_loadcnt_dscnt 0x3
	v_mul_f64_e32 v[92:93], v[102:103], v[30:31]
	v_mul_f64_e32 v[94:95], v[102:103], v[28:29]
	scratch_load_b128 v[102:105], off, off offset:912 th:TH_LOAD_LU ; 16-byte Folded Reload
	v_fma_f64 v[106:107], v[100:101], v[30:31], -v[94:95]
	s_wait_loadcnt_dscnt 0x1
	v_mul_f64_e32 v[96:97], v[104:105], v[86:87]
	v_mul_f64_e32 v[98:99], v[104:105], v[84:85]
	v_fma_f64 v[104:105], v[100:101], v[28:29], v[92:93]
	ds_load_b128 v[28:31], v214 offset:3840
	ds_load_b128 v[92:95], v214 offset:3584
	scratch_load_b128 v[114:117], off, off offset:896 th:TH_LOAD_LU ; 16-byte Folded Reload
	v_fma_f64 v[108:109], v[102:103], v[84:85], v[96:97]
	v_fma_f64 v[110:111], v[102:103], v[86:87], -v[98:99]
	ds_load_b128 v[84:87], v214 offset:5120
	s_wait_loadcnt_dscnt 0x2
	v_mul_f64_e32 v[100:101], v[116:117], v[30:31]
	v_mul_f64_e32 v[96:97], v[116:117], v[28:29]
	s_delay_alu instid0(VALU_DEP_2)
	v_fma_f64 v[112:113], v[114:115], v[28:29], v[100:101]
	scratch_load_b128 v[100:103], off, off offset:880 th:TH_LOAD_LU ; 16-byte Folded Reload
	v_fma_f64 v[114:115], v[114:115], v[30:31], -v[96:97]
	ds_load_b128 v[28:31], v214 offset:5376
	s_wait_loadcnt_dscnt 0x1
	v_mul_f64_e32 v[96:97], v[102:103], v[86:87]
	v_mul_f64_e32 v[98:99], v[102:103], v[84:85]
	s_delay_alu instid0(VALU_DEP_2) | instskip(NEXT) | instid1(VALU_DEP_2)
	v_fma_f64 v[116:117], v[100:101], v[84:85], v[96:97]
	v_fma_f64 v[118:119], v[100:101], v[86:87], -v[98:99]
	ds_load_b128 v[84:87], v214 offset:6400
	ds_load_b128 v[96:99], v214 offset:6144
	s_wait_dscnt 0x1
	v_mul_f64_e32 v[100:101], v[250:251], v[86:87]
	s_delay_alu instid0(VALU_DEP_1) | instskip(SKIP_1) | instid1(VALU_DEP_1)
	v_fma_f64 v[120:121], v[248:249], v[84:85], v[100:101]
	v_mul_f64_e32 v[84:85], v[250:251], v[84:85]
	v_fma_f64 v[122:123], v[248:249], v[86:87], -v[84:85]
	ds_load_b128 v[84:87], v214 offset:1536
	ds_load_b128 v[100:103], v214 offset:1792
	s_wait_dscnt 0x1
	v_mul_f64_e32 v[124:125], v[10:11], v[86:87]
	v_mul_f64_e32 v[10:11], v[10:11], v[84:85]
	s_delay_alu instid0(VALU_DEP_2) | instskip(NEXT) | instid1(VALU_DEP_2)
	v_fma_f64 v[124:125], v[8:9], v[84:85], v[124:125]
	v_fma_f64 v[84:85], v[8:9], v[86:87], -v[10:11]
	v_mul_f64_e32 v[8:9], v[6:7], v[90:91]
	v_mul_f64_e32 v[6:7], v[6:7], v[88:89]
	s_delay_alu instid0(VALU_DEP_2) | instskip(NEXT) | instid1(VALU_DEP_2)
	v_fma_f64 v[86:87], v[4:5], v[88:89], v[8:9]
	v_fma_f64 v[88:89], v[4:5], v[90:91], -v[6:7]
	ds_load_b128 v[4:7], v214 offset:4096
	ds_load_b128 v[8:11], v214 offset:4352
	s_wait_dscnt 0x1
	v_mul_f64_e32 v[90:91], v[2:3], v[6:7]
	v_mul_f64_e32 v[2:3], v[2:3], v[4:5]
	s_delay_alu instid0(VALU_DEP_2) | instskip(NEXT) | instid1(VALU_DEP_2)
	v_fma_f64 v[90:91], v[0:1], v[4:5], v[90:91]
	v_fma_f64 v[126:127], v[0:1], v[6:7], -v[2:3]
	v_mul_f64_e32 v[0:1], v[254:255], v[30:31]
	s_delay_alu instid0(VALU_DEP_1) | instskip(SKIP_1) | instid1(VALU_DEP_1)
	v_fma_f64 v[128:129], v[252:253], v[28:29], v[0:1]
	v_mul_f64_e32 v[0:1], v[254:255], v[28:29]
	v_fma_f64 v[28:29], v[252:253], v[30:31], -v[0:1]
	ds_load_b128 v[0:3], v214 offset:6656
	ds_load_b128 v[4:7], v214 offset:6912
	s_wait_dscnt 0x1
	v_mul_f64_e32 v[30:31], v[14:15], v[2:3]
	s_delay_alu instid0(VALU_DEP_1) | instskip(SKIP_1) | instid1(VALU_DEP_1)
	v_fma_f64 v[30:31], v[12:13], v[0:1], v[30:31]
	v_mul_f64_e32 v[0:1], v[14:15], v[0:1]
	v_fma_f64 v[130:131], v[12:13], v[2:3], -v[0:1]
	v_mul_f64_e32 v[0:1], v[46:47], v[102:103]
	s_delay_alu instid0(VALU_DEP_1) | instskip(SKIP_1) | instid1(VALU_DEP_1)
	v_fma_f64 v[132:133], v[44:45], v[100:101], v[0:1]
	v_mul_f64_e32 v[0:1], v[46:47], v[100:101]
	v_fma_f64 v[44:45], v[44:45], v[102:103], -v[0:1]
	ds_load_b128 v[0:3], v214 offset:3072
	ds_load_b128 v[12:15], v214 offset:3328
	s_wait_dscnt 0x1
	v_mul_f64_e32 v[46:47], v[22:23], v[2:3]
	s_delay_alu instid0(VALU_DEP_1) | instskip(SKIP_2) | instid1(VALU_DEP_2)
	v_fma_f64 v[46:47], v[20:21], v[0:1], v[46:47]
	v_mul_f64_e32 v[0:1], v[22:23], v[0:1]
	v_add_f64_e64 v[22:23], v[110:111], -v[118:119]
	v_fma_f64 v[100:101], v[20:21], v[2:3], -v[0:1]
	v_mul_f64_e32 v[0:1], v[38:39], v[10:11]
	s_delay_alu instid0(VALU_DEP_1) | instskip(SKIP_1) | instid1(VALU_DEP_1)
	v_fma_f64 v[102:103], v[36:37], v[8:9], v[0:1]
	v_mul_f64_e32 v[0:1], v[38:39], v[8:9]
	v_fma_f64 v[36:37], v[36:37], v[10:11], -v[0:1]
	ds_load_b128 v[0:3], v214 offset:5632
	ds_load_b128 v[8:11], v214 offset:5888
	s_wait_dscnt 0x1
	v_mul_f64_e32 v[20:21], v[18:19], v[2:3]
	s_delay_alu instid0(VALU_DEP_1) | instskip(SKIP_2) | instid1(VALU_DEP_2)
	v_fma_f64 v[38:39], v[16:17], v[0:1], v[20:21]
	v_mul_f64_e32 v[0:1], v[18:19], v[0:1]
	v_add_f64_e32 v[20:21], v[104:105], v[112:113]
	v_fma_f64 v[134:135], v[16:17], v[2:3], -v[0:1]
	v_mul_f64_e32 v[0:1], v[34:35], v[6:7]
	s_delay_alu instid0(VALU_DEP_3) | instskip(NEXT) | instid1(VALU_DEP_2)
	v_add_f64_e32 v[20:21], v[20:21], v[120:121]
	v_fma_f64 v[136:137], v[32:33], v[4:5], v[0:1]
	v_mul_f64_e32 v[0:1], v[34:35], v[4:5]
	s_delay_alu instid0(VALU_DEP_1) | instskip(SKIP_4) | instid1(VALU_DEP_1)
	v_fma_f64 v[32:33], v[32:33], v[6:7], -v[0:1]
	ds_load_b128 v[0:3], v214 offset:2048
	ds_load_b128 v[4:7], v214 offset:2304
	s_wait_dscnt 0x1
	v_mul_f64_e32 v[16:17], v[42:43], v[2:3]
	v_fma_f64 v[138:139], v[40:41], v[0:1], v[16:17]
	v_mul_f64_e32 v[0:1], v[42:43], v[0:1]
	s_delay_alu instid0(VALU_DEP_1) | instskip(SKIP_1) | instid1(VALU_DEP_1)
	v_fma_f64 v[140:141], v[40:41], v[2:3], -v[0:1]
	v_mul_f64_e32 v[0:1], v[50:51], v[14:15]
	v_fma_f64 v[34:35], v[48:49], v[12:13], v[0:1]
	v_mul_f64_e32 v[0:1], v[50:51], v[12:13]
	s_delay_alu instid0(VALU_DEP_1) | instskip(SKIP_4) | instid1(VALU_DEP_1)
	v_fma_f64 v[40:41], v[48:49], v[14:15], -v[0:1]
	ds_load_b128 v[0:3], v214 offset:4608
	ds_load_b128 v[12:15], v214 offset:4864
	s_wait_dscnt 0x1
	v_mul_f64_e32 v[16:17], v[54:55], v[2:3]
	v_fma_f64 v[48:49], v[52:53], v[0:1], v[16:17]
	v_mul_f64_e32 v[0:1], v[54:55], v[0:1]
	s_delay_alu instid0(VALU_DEP_1) | instskip(SKIP_1) | instid1(VALU_DEP_1)
	v_fma_f64 v[50:51], v[52:53], v[2:3], -v[0:1]
	v_mul_f64_e32 v[0:1], v[58:59], v[10:11]
	v_fma_f64 v[42:43], v[56:57], v[8:9], v[0:1]
	v_mul_f64_e32 v[0:1], v[58:59], v[8:9]
	s_delay_alu instid0(VALU_DEP_1) | instskip(SKIP_4) | instid1(VALU_DEP_1)
	v_fma_f64 v[52:53], v[56:57], v[10:11], -v[0:1]
	ds_load_b128 v[0:3], v214 offset:7168
	ds_load_b128 v[8:11], v214 offset:7424
	s_wait_dscnt 0x1
	v_mul_f64_e32 v[16:17], v[62:63], v[2:3]
	v_fma_f64 v[54:55], v[60:61], v[0:1], v[16:17]
	v_mul_f64_e32 v[0:1], v[62:63], v[0:1]
	s_delay_alu instid0(VALU_DEP_1) | instskip(SKIP_2) | instid1(VALU_DEP_2)
	v_fma_f64 v[56:57], v[60:61], v[2:3], -v[0:1]
	v_mul_f64_e32 v[0:1], v[70:71], v[6:7]
	v_mul_f64_e32 v[2:3], v[82:83], v[92:93]
	v_fma_f64 v[58:59], v[68:69], v[4:5], v[0:1]
	v_mul_f64_e32 v[0:1], v[70:71], v[4:5]
	v_mul_f64_e32 v[4:5], v[74:75], v[98:99]
	s_delay_alu instid0(VALU_DEP_2)
	v_fma_f64 v[60:61], v[68:69], v[6:7], -v[0:1]
	v_mul_f64_e32 v[0:1], v[82:83], v[94:95]
	v_fma_f64 v[68:69], v[80:81], v[94:95], -v[2:3]
	v_mul_f64_e32 v[2:3], v[78:79], v[12:13]
	v_mul_f64_e32 v[6:7], v[74:75], v[96:97]
	v_add_f64_e32 v[94:95], v[112:113], v[120:121]
	v_fma_f64 v[62:63], v[80:81], v[92:93], v[0:1]
	v_mul_f64_e32 v[0:1], v[78:79], v[14:15]
	v_fma_f64 v[74:75], v[76:77], v[14:15], -v[2:3]
	v_add_f64_e32 v[14:15], v[110:111], v[118:119]
	s_wait_dscnt 0x0
	v_mul_f64_e32 v[78:79], v[66:67], v[10:11]
	v_mul_f64_e32 v[66:67], v[66:67], v[8:9]
	v_add_f64_e64 v[80:81], v[108:109], -v[116:117]
	v_fma_f64 v[70:71], v[76:77], v[12:13], v[0:1]
	v_add_f64_e32 v[12:13], v[108:109], v[116:117]
	ds_load_b128 v[0:3], v247
	v_fma_f64 v[76:77], v[72:73], v[96:97], v[4:5]
	v_fma_f64 v[72:73], v[72:73], v[98:99], -v[6:7]
	ds_load_b128 v[4:7], v214 offset:256
	v_add_f64_e64 v[96:97], v[112:113], -v[120:121]
	v_fma_f64 v[78:79], v[64:65], v[8:9], v[78:79]
	v_fma_f64 v[64:65], v[64:65], v[10:11], -v[66:67]
	s_wait_dscnt 0x1
	v_add_f64_e32 v[16:17], v[2:3], v[110:111]
	v_add_f64_e32 v[18:19], v[0:1], v[108:109]
	v_fma_f64 v[14:15], v[14:15], -0.5, v[2:3]
	v_add_f64_e32 v[2:3], v[114:115], v[122:123]
	s_wait_dscnt 0x0
	v_add_f64_e32 v[98:99], v[4:5], v[86:87]
	v_add_f64_e32 v[66:67], v[6:7], v[88:89]
	;; [unrolled: 1-line block ×3, first 2 shown]
	v_add_f64_e64 v[110:111], v[114:115], -v[122:123]
	v_fma_f64 v[12:13], v[12:13], -0.5, v[0:1]
	v_add_f64_e32 v[0:1], v[106:107], v[114:115]
	v_add_f64_e32 v[16:17], v[16:17], v[118:119]
	;; [unrolled: 1-line block ×3, first 2 shown]
	v_add_f64_e64 v[116:117], v[126:127], -v[130:131]
	v_fma_f64 v[92:93], v[2:3], -0.5, v[106:107]
	v_add_f64_e32 v[106:107], v[124:125], v[90:91]
	v_add_f64_e32 v[118:119], v[132:133], v[102:103]
	;; [unrolled: 1-line block ×4, first 2 shown]
	v_add_f64_e64 v[8:9], v[18:19], -v[20:21]
	v_add_f64_e32 v[18:19], v[88:89], v[28:29]
	v_add_f64_e32 v[20:21], v[98:99], v[128:129]
	s_wait_alu 0xfffe
	v_fma_f64 v[98:99], v[22:23], s[0:1], v[12:13]
	v_fma_f64 v[112:113], v[96:97], s[0:1], v[92:93]
	;; [unrolled: 1-line block ×3, first 2 shown]
	v_add_f64_e32 v[96:97], v[108:109], v[130:131]
	v_add_f64_e32 v[118:119], v[118:119], v[136:137]
	;; [unrolled: 1-line block ×3, first 2 shown]
	v_add_f64_e64 v[10:11], v[16:17], -v[82:83]
	v_add_f64_e32 v[16:17], v[86:87], v[128:129]
	v_fma_f64 v[82:83], v[94:95], -0.5, v[104:105]
	v_fma_f64 v[94:95], v[22:23], s[8:9], v[12:13]
	v_add_f64_e32 v[22:23], v[66:67], v[28:29]
	v_add_f64_e32 v[12:13], v[90:91], v[30:31]
	;; [unrolled: 1-line block ×3, first 2 shown]
	v_add_f64_e64 v[28:29], v[88:89], -v[28:29]
	v_add_f64_e32 v[88:89], v[46:47], v[38:39]
	v_fma_f64 v[104:105], v[80:81], s[0:1], v[14:15]
	v_fma_f64 v[80:81], v[80:81], s[8:9], v[14:15]
	v_add_f64_e64 v[30:31], v[90:91], -v[30:31]
	v_add_f64_e32 v[90:91], v[44:45], v[36:37]
	v_add_f64_e64 v[86:87], v[86:87], -v[128:129]
	v_fma_f64 v[108:109], v[18:19], -0.5, v[6:7]
	v_fma_f64 v[106:107], v[16:17], -0.5, v[4:5]
	ds_load_b128 v[4:7], v214 offset:512
	v_fma_f64 v[120:121], v[110:111], s[8:9], v[82:83]
	v_add_f64_e32 v[14:15], v[22:23], v[96:97]
	v_fma_f64 v[114:115], v[12:13], -0.5, v[124:125]
	v_add_f64_e32 v[12:13], v[20:21], v[66:67]
	v_add_f64_e64 v[16:17], v[20:21], -v[66:67]
	v_add_f64_e64 v[18:19], v[22:23], -v[96:97]
	ds_load_b128 v[20:23], v214 offset:768
	v_add_f64_e32 v[96:97], v[126:127], v[130:131]
	v_add_f64_e32 v[90:91], v[90:91], v[32:33]
	s_wait_dscnt 0x1
	v_fma_f64 v[66:67], v[88:89], -0.5, v[4:5]
	v_add_f64_e32 v[88:89], v[100:101], v[134:135]
	v_add_f64_e32 v[4:5], v[4:5], v[46:47]
	v_fma_f64 v[84:85], v[96:97], -0.5, v[84:85]
	s_delay_alu instid0(VALU_DEP_3) | instskip(SKIP_1) | instid1(VALU_DEP_4)
	v_fma_f64 v[88:89], v[88:89], -0.5, v[6:7]
	v_add_f64_e32 v[6:7], v[6:7], v[100:101]
	v_add_f64_e32 v[96:97], v[4:5], v[38:39]
	v_add_f64_e64 v[4:5], v[100:101], -v[134:135]
	s_delay_alu instid0(VALU_DEP_3)
	v_add_f64_e32 v[100:101], v[6:7], v[134:135]
	v_add_f64_e64 v[6:7], v[46:47], -v[38:39]
	v_add_f64_e64 v[38:39], v[36:37], -v[32:33]
	v_add_f64_e32 v[36:37], v[36:37], v[32:33]
	v_add_f64_e32 v[46:47], v[40:41], v[52:53]
	;; [unrolled: 1-line block ×3, first 2 shown]
	v_fma_f64 v[128:129], v[4:5], s[0:1], v[66:67]
	s_delay_alu instid0(VALU_DEP_4)
	v_fma_f64 v[36:37], v[36:37], -0.5, v[44:45]
	s_wait_dscnt 0x0
	v_add_f64_e32 v[44:45], v[20:21], v[34:35]
	v_fma_f64 v[46:47], v[46:47], -0.5, v[22:23]
	v_add_f64_e32 v[22:23], v[22:23], v[40:41]
	v_fma_f64 v[20:21], v[32:33], -0.5, v[20:21]
	v_add_f64_e32 v[32:33], v[102:103], v[136:137]
	v_add_f64_e64 v[102:103], v[102:103], -v[136:137]
	v_add_f64_e64 v[40:41], v[40:41], -v[52:53]
	v_add_f64_e32 v[122:123], v[22:23], v[52:53]
	v_mul_f64_e32 v[22:23], s[8:9], v[112:113]
	v_mul_f64_e32 v[52:53], 0.5, v[112:113]
	v_add_f64_e32 v[112:113], v[44:45], v[42:43]
	v_add_f64_e64 v[44:45], v[34:35], -v[42:43]
	v_fma_f64 v[34:35], v[30:31], s[0:1], v[84:85]
	v_fma_f64 v[42:43], v[110:111], s[0:1], v[82:83]
	;; [unrolled: 1-line block ×3, first 2 shown]
	v_mul_f64_e32 v[84:85], s[8:9], v[92:93]
	v_fma_f64 v[32:33], v[32:33], -0.5, v[132:133]
	v_fma_f64 v[82:83], v[116:117], s[8:9], v[114:115]
	v_mul_f64_e32 v[92:93], -0.5, v[92:93]
	v_fma_f64 v[124:125], v[102:103], s[0:1], v[36:37]
	v_fma_f64 v[102:103], v[102:103], s[8:9], v[36:37]
	;; [unrolled: 1-line block ×5, first 2 shown]
	v_fma_f64 v[22:23], v[120:121], 0.5, v[22:23]
	v_fma_f64 v[52:53], v[120:121], s[0:1], v[52:53]
	v_fma_f64 v[120:121], v[86:87], s[0:1], v[108:109]
	;; [unrolled: 1-line block ×3, first 2 shown]
	v_mul_f64_e32 v[110:111], s[8:9], v[34:35]
	v_mul_f64_e32 v[34:35], 0.5, v[34:35]
	v_fma_f64 v[108:109], v[4:5], s[8:9], v[66:67]
	v_fma_f64 v[84:85], v[42:43], -0.5, v[84:85]
	v_fma_f64 v[66:67], v[6:7], s[0:1], v[88:89]
	v_fma_f64 v[88:89], v[6:7], s[8:9], v[88:89]
	;; [unrolled: 1-line block ×7, first 2 shown]
	v_mul_f64_e32 v[116:117], s[8:9], v[30:31]
	v_mul_f64_e32 v[126:127], -0.5, v[30:31]
	v_add_f64_e32 v[4:5], v[94:95], v[22:23]
	v_add_f64_e32 v[6:7], v[104:105], v[52:53]
	v_add_f64_e64 v[20:21], v[94:95], -v[22:23]
	v_add_f64_e64 v[22:23], v[104:105], -v[52:53]
	v_fma_f64 v[110:111], v[82:83], 0.5, v[110:111]
	v_mul_f64_e32 v[52:53], s[8:9], v[124:125]
	v_fma_f64 v[82:83], v[82:83], s[0:1], v[34:35]
	v_add_f64_e32 v[28:29], v[98:99], v[84:85]
	v_add_f64_e64 v[32:33], v[98:99], -v[84:85]
	v_add_f64_e32 v[84:85], v[50:51], v[56:57]
	v_fma_f64 v[94:95], v[44:45], s[8:9], v[46:47]
	v_add_f64_e32 v[104:105], v[138:139], v[48:49]
	v_add_f64_e32 v[30:31], v[80:81], v[42:43]
	v_add_f64_e64 v[34:35], v[80:81], -v[42:43]
	v_mul_f64_e32 v[80:81], 0.5, v[124:125]
	v_add_f64_e32 v[36:37], v[92:93], v[110:111]
	v_add_f64_e64 v[40:41], v[92:93], -v[110:111]
	v_fma_f64 v[92:93], v[44:45], s[0:1], v[46:47]
	v_add_f64_e32 v[44:45], v[48:49], v[54:55]
	v_fma_f64 v[98:99], v[130:131], 0.5, v[52:53]
	v_mul_f64_e32 v[52:53], s[8:9], v[102:103]
	v_add_f64_e64 v[48:49], v[48:49], -v[54:55]
	v_fma_f64 v[84:85], v[84:85], -0.5, v[140:141]
	v_add_f64_e32 v[38:39], v[120:121], v[82:83]
	v_add_f64_e64 v[42:43], v[120:121], -v[82:83]
	v_fma_f64 v[46:47], v[114:115], -0.5, v[116:117]
	v_fma_f64 v[82:83], v[114:115], s[0:1], v[126:127]
	v_add_f64_e32 v[104:105], v[104:105], v[54:55]
	v_fma_f64 v[80:81], v[130:131], s[0:1], v[80:81]
	v_mul_f64_e32 v[102:103], -0.5, v[102:103]
	v_fma_f64 v[44:45], v[44:45], -0.5, v[138:139]
	v_fma_f64 v[110:111], v[132:133], -0.5, v[52:53]
	v_add_f64_e64 v[52:53], v[50:51], -v[56:57]
	v_add_f64_e32 v[50:51], v[140:141], v[50:51]
	v_fma_f64 v[114:115], v[48:49], s[0:1], v[84:85]
	v_fma_f64 v[48:49], v[48:49], s[8:9], v[84:85]
	v_add_f64_e32 v[84:85], v[68:69], v[72:73]
	v_fma_f64 v[102:103], v[132:133], s[0:1], v[102:103]
	v_fma_f64 v[54:55], v[52:53], s[8:9], v[44:45]
	;; [unrolled: 1-line block ×3, first 2 shown]
	v_add_f64_e32 v[116:117], v[50:51], v[56:57]
	v_mul_f64_e32 v[50:51], s[8:9], v[114:115]
	v_mul_f64_e32 v[52:53], 0.5, v[114:115]
	v_add_f64_e32 v[56:57], v[62:63], v[76:77]
	s_delay_alu instid0(VALU_DEP_3) | instskip(NEXT) | instid1(VALU_DEP_3)
	v_fma_f64 v[114:115], v[54:55], 0.5, v[50:51]
	v_fma_f64 v[120:121], v[54:55], s[0:1], v[52:53]
	v_mul_f64_e32 v[54:55], s[8:9], v[48:49]
	v_mul_f64_e32 v[48:49], -0.5, v[48:49]
	v_add_f64_e32 v[50:51], v[24:25], v[62:63]
	v_fma_f64 v[24:25], v[56:57], -0.5, v[24:25]
	v_add_f64_e32 v[56:57], v[58:59], v[70:71]
	v_fma_f64 v[52:53], v[84:85], -0.5, v[26:27]
	v_add_f64_e32 v[26:27], v[26:27], v[68:69]
	v_add_f64_e64 v[84:85], v[134:135], -v[114:115]
	v_fma_f64 v[124:125], v[44:45], -0.5, v[54:55]
	v_fma_f64 v[126:127], v[44:45], s[0:1], v[48:49]
	v_add_f64_e32 v[44:45], v[74:75], v[64:65]
	v_add_f64_e32 v[130:131], v[50:51], v[76:77]
	;; [unrolled: 1-line block ×3, first 2 shown]
	v_add_f64_e64 v[54:55], v[70:71], -v[78:79]
	v_add_f64_e32 v[138:139], v[56:57], v[78:79]
	v_add_f64_e32 v[56:57], v[60:61], v[74:75]
	v_add_f64_e64 v[48:49], v[68:69], -v[72:73]
	v_add_f64_e32 v[132:133], v[26:27], v[72:73]
	v_add_f64_e64 v[26:27], v[62:63], -v[76:77]
	v_add_f64_e64 v[76:77], v[112:113], -v[104:105]
	;; [unrolled: 1-line block ×5, first 2 shown]
	v_add_f64_e32 v[72:73], v[112:113], v[104:105]
	v_fma_f64 v[44:45], v[44:45], -0.5, v[60:61]
	v_fma_f64 v[50:51], v[50:51], -0.5, v[58:59]
	v_add_f64_e32 v[140:141], v[56:57], v[64:65]
	v_fma_f64 v[142:143], v[48:49], s[8:9], v[24:25]
	v_fma_f64 v[150:151], v[48:49], s[0:1], v[24:25]
	;; [unrolled: 1-line block ×4, first 2 shown]
	v_add_f64_e32 v[24:25], v[106:107], v[46:47]
	v_add_f64_e32 v[48:49], v[96:97], v[118:119]
	;; [unrolled: 1-line block ×4, first 2 shown]
	v_add_f64_e64 v[52:53], v[96:97], -v[118:119]
	v_add_f64_e32 v[96:97], v[130:131], v[138:139]
	v_fma_f64 v[58:59], v[54:55], s[0:1], v[44:45]
	v_fma_f64 v[44:45], v[54:55], s[8:9], v[44:45]
	v_add_f64_e64 v[54:55], v[74:75], -v[64:65]
	v_add_f64_e32 v[64:65], v[128:129], v[110:111]
	v_add_f64_e32 v[74:75], v[122:123], v[116:117]
	v_mul_f64_e32 v[62:63], s[8:9], v[58:59]
	v_mul_f64_e32 v[58:59], 0.5, v[58:59]
	v_fma_f64 v[60:61], v[54:55], s[8:9], v[50:51]
	v_fma_f64 v[50:51], v[54:55], s[0:1], v[50:51]
	v_mul_f64_e32 v[54:55], s[8:9], v[44:45]
	v_mul_f64_e32 v[44:45], -0.5, v[44:45]
	s_delay_alu instid0(VALU_DEP_4) | instskip(SKIP_1) | instid1(VALU_DEP_4)
	v_fma_f64 v[144:145], v[60:61], 0.5, v[62:63]
	v_fma_f64 v[146:147], v[60:61], s[0:1], v[58:59]
	v_fma_f64 v[154:155], v[50:51], -0.5, v[54:55]
	s_delay_alu instid0(VALU_DEP_4)
	v_fma_f64 v[156:157], v[50:51], s[0:1], v[44:45]
	v_add_f64_e64 v[44:45], v[106:107], -v[46:47]
	v_add_f64_e64 v[46:47], v[86:87], -v[82:83]
	v_add_f64_e32 v[50:51], v[100:101], v[90:91]
	v_add_f64_e32 v[58:59], v[66:67], v[80:81]
	v_add_f64_e64 v[62:63], v[66:67], -v[80:81]
	v_add_f64_e32 v[66:67], v[88:89], v[102:103]
	v_add_f64_e64 v[60:61], v[108:109], -v[98:99]
	v_add_f64_e32 v[80:81], v[134:135], v[114:115]
	v_add_f64_e32 v[82:83], v[92:93], v[120:121]
	v_add_f64_e64 v[54:55], v[100:101], -v[90:91]
	v_add_f64_e64 v[86:87], v[92:93], -v[120:121]
	v_add_f64_e32 v[90:91], v[94:95], v[126:127]
	v_add_f64_e64 v[92:93], v[136:137], -v[124:125]
	v_add_f64_e64 v[94:95], v[94:95], -v[126:127]
	v_add_f64_e32 v[98:99], v[132:133], v[140:141]
	v_add_f64_e32 v[88:89], v[136:137], v[124:125]
	v_add_f64_e64 v[100:101], v[130:131], -v[138:139]
	v_add_f64_e64 v[102:103], v[132:133], -v[140:141]
	s_mov_b32 s0, 0x11111111
	s_mov_b32 s1, 0x3f611111
	v_add_f64_e32 v[104:105], v[142:143], v[144:145]
	v_add_f64_e32 v[106:107], v[148:149], v[146:147]
	;; [unrolled: 1-line block ×4, first 2 shown]
	v_add_f64_e64 v[108:109], v[142:143], -v[144:145]
	v_add_f64_e64 v[110:111], v[148:149], -v[146:147]
	;; [unrolled: 1-line block ×4, first 2 shown]
	ds_store_b128 v247, v[0:3]
	ds_store_b128 v214, v[4:7] offset:1280
	ds_store_b128 v214, v[36:39] offset:1536
	;; [unrolled: 1-line block ×29, first 2 shown]
	global_wb scope:SCOPE_SE
	s_wait_dscnt 0x0
	s_barrier_signal -1
	s_barrier_wait -1
	global_inv scope:SCOPE_SE
	ds_load_b128 v[4:7], v247
	ds_load_b128 v[0:3], v214 offset:256
	scratch_load_b128 v[46:49], off, off offset:112 th:TH_LOAD_LU ; 16-byte Folded Reload
	ds_load_b128 v[8:11], v214 offset:768
	ds_load_b128 v[12:15], v214 offset:1536
	;; [unrolled: 1-line block ×4, first 2 shown]
	s_clause 0x3
	scratch_load_b128 v[62:65], off, off offset:176 th:TH_LOAD_LU
	scratch_load_b128 v[68:71], off, off offset:144 th:TH_LOAD_LU
	scratch_load_b64 v[56:57], off, off offset:40 th:TH_LOAD_LU
	scratch_load_b128 v[132:135], off, off offset:48 th:TH_LOAD_LU
	v_mad_co_u64_u32 v[58:59], null, s4, v246, 0
	s_clause 0x2
	scratch_load_b128 v[106:109], off, off offset:64 th:TH_LOAD_LU
	scratch_load_b128 v[112:115], off, off offset:80 th:TH_LOAD_LU
	;; [unrolled: 1-line block ×3, first 2 shown]
	ds_load_b128 v[24:27], v214 offset:3072
	ds_load_b128 v[28:31], v214 offset:1792
	s_wait_loadcnt_dscnt 0x707
	v_mul_f64_e32 v[32:33], v[48:49], v[6:7]
	v_mul_f64_e32 v[34:35], v[48:49], v[4:5]
	s_wait_loadcnt_dscnt 0x605
	v_mul_f64_e32 v[36:37], v[64:65], v[10:11]
	s_wait_loadcnt_dscnt 0x504
	v_mul_f64_e32 v[40:41], v[70:71], v[14:15]
	v_mul_f64_e32 v[44:45], v[70:71], v[12:13]
	scratch_load_b128 v[70:73], off, off offset:128 th:TH_LOAD_LU ; 16-byte Folded Reload
	v_mul_f64_e32 v[38:39], v[64:65], v[8:9]
	s_wait_loadcnt 0x5
	v_mov_b32_e32 v64, v56
	s_delay_alu instid0(VALU_DEP_1) | instskip(NEXT) | instid1(VALU_DEP_1)
	v_mad_co_u64_u32 v[56:57], null, s6, v64, 0
	v_mad_co_u64_u32 v[64:65], null, s7, v64, v[57:58]
	s_delay_alu instid0(VALU_DEP_1)
	v_mov_b32_e32 v57, v64
	v_fma_f64 v[42:43], v[46:47], v[4:5], v[32:33]
	v_fma_f64 v[46:47], v[46:47], v[6:7], -v[34:35]
	v_fma_f64 v[60:61], v[62:63], v[8:9], v[36:37]
	ds_load_b128 v[32:35], v214 offset:3328
	ds_load_b128 v[4:7], v214 offset:2048
	v_fma_f64 v[62:63], v[62:63], v[10:11], -v[38:39]
	ds_load_b128 v[8:11], v214 offset:3840
	ds_load_b128 v[36:39], v214 offset:4608
	v_mad_co_u64_u32 v[65:66], null, s5, v246, v[59:60]
	v_fma_f64 v[66:67], v[68:69], v[12:13], v[40:41]
	s_wait_alu 0xfffe
	v_mul_f64_e32 v[12:13], s[0:1], v[42:43]
	ds_load_b128 v[40:43], v214 offset:5376
	v_fma_f64 v[68:69], v[68:69], v[14:15], -v[44:45]
	v_lshlrev_b64_e32 v[44:45], 4, v[56:57]
	v_mul_f64_e32 v[14:15], s[0:1], v[46:47]
	v_mov_b32_e32 v59, v65
	s_wait_loadcnt_dscnt 0x400
	v_mul_f64_e32 v[96:97], v[134:135], v[42:43]
	v_mul_f64_e32 v[98:99], v[134:135], v[40:41]
	scratch_load_b128 v[134:137], off, off offset:96 th:TH_LOAD_LU ; 16-byte Folded Reload
	v_mul_f64_e32 v[56:57], s[0:1], v[66:67]
	ds_load_b128 v[64:67], v214 offset:1024
	v_fma_f64 v[96:97], v[132:133], v[40:41], v[96:97]
	v_fma_f64 v[98:99], v[132:133], v[42:43], -v[98:99]
	s_wait_loadcnt 0x1
	v_mul_f64_e32 v[48:49], v[72:73], v[18:19]
	v_mul_f64_e32 v[50:51], v[72:73], v[16:17]
	scratch_load_b128 v[72:75], off, off offset:160 th:TH_LOAD_LU ; 16-byte Folded Reload
	v_fma_f64 v[76:77], v[70:71], v[16:17], v[48:49]
	v_fma_f64 v[78:79], v[70:71], v[18:19], -v[50:51]
	v_add_co_u32 v50, vcc_lo, s2, v44
	s_wait_alu 0xfffd
	v_add_co_ci_u32_e32 v51, vcc_lo, s3, v45, vcc_lo
	ds_load_b128 v[44:47], v214 offset:6144
	v_lshlrev_b64_e32 v[48:49], 4, v[58:59]
	ds_load_b128 v[16:19], v214 offset:3584
	v_mul_f64_e32 v[84:85], v[108:109], v[10:11]
	v_mul_f64_e32 v[86:87], v[108:109], v[8:9]
	;; [unrolled: 1-line block ×3, first 2 shown]
	s_mul_u64 s[2:3], s[4:5], 0x300
	v_add_co_u32 v92, vcc_lo, v50, v48
	s_wait_alu 0xfffd
	v_add_co_ci_u32_e32 v93, vcc_lo, v51, v49, vcc_lo
	v_mul_f64_e32 v[48:49], s[0:1], v[60:61]
	v_mul_f64_e32 v[50:51], s[0:1], v[62:63]
	ds_load_b128 v[60:63], v214 offset:5120
	s_wait_alu 0xfffe
	v_add_co_u32 v94, vcc_lo, v92, s2
	s_wait_alu 0xfffd
	v_add_co_ci_u32_e32 v95, vcc_lo, s3, v93, vcc_lo
	ds_load_b128 v[68:71], v214 offset:6400
	v_add_co_u32 v128, vcc_lo, v94, s2
	s_wait_alu 0xfffd
	v_add_co_ci_u32_e32 v129, vcc_lo, s3, v95, vcc_lo
	s_mulk_i32 s5, 0xe600
	s_delay_alu instid0(VALU_DEP_2) | instskip(SKIP_1) | instid1(VALU_DEP_2)
	v_add_co_u32 v130, vcc_lo, v128, s2
	s_wait_alu 0xfffd
	v_add_co_ci_u32_e32 v131, vcc_lo, s3, v129, vcc_lo
	s_wait_alu 0xfffe
	s_sub_co_i32 s5, s5, s4
	v_add_co_u32 v40, vcc_lo, v130, s2
	s_wait_alu 0xfffd
	v_add_co_ci_u32_e32 v41, vcc_lo, s3, v131, vcc_lo
	v_mul_f64_e32 v[76:77], s[0:1], v[76:77]
	v_mul_f64_e32 v[78:79], s[0:1], v[78:79]
	v_fma_f64 v[104:105], v[106:107], v[8:9], v[84:85]
	v_fma_f64 v[106:107], v[106:107], v[10:11], -v[86:87]
	ds_load_b128 v[8:11], v214 offset:6656
	ds_load_b128 v[84:87], v214 offset:2816
	s_wait_loadcnt_dscnt 0x105
	v_mul_f64_e32 v[100:101], v[136:137], v[46:47]
	v_mul_f64_e32 v[102:103], v[136:137], v[44:45]
	scratch_load_b128 v[136:139], off, off offset:192 th:TH_LOAD_LU ; 16-byte Folded Reload
	v_fma_f64 v[44:45], v[134:135], v[44:45], v[100:101]
	v_fma_f64 v[46:47], v[134:135], v[46:47], -v[102:103]
	s_delay_alu instid0(VALU_DEP_2) | instskip(NEXT) | instid1(VALU_DEP_2)
	v_mul_f64_e32 v[44:45], s[0:1], v[44:45]
	v_mul_f64_e32 v[46:47], s[0:1], v[46:47]
	s_wait_loadcnt 0x1
	v_mul_f64_e32 v[52:53], v[74:75], v[26:27]
	v_mul_f64_e32 v[54:55], v[74:75], v[24:25]
	s_delay_alu instid0(VALU_DEP_2) | instskip(NEXT) | instid1(VALU_DEP_2)
	v_fma_f64 v[80:81], v[72:73], v[24:25], v[52:53]
	v_fma_f64 v[82:83], v[72:73], v[26:27], -v[54:55]
	ds_load_b128 v[52:55], v214 offset:6912
	ds_load_b128 v[24:27], v214 offset:4864
	v_mul_f64_e32 v[88:89], v[114:115], v[38:39]
	v_mul_f64_e32 v[90:91], v[114:115], v[36:37]
	ds_load_b128 v[72:75], v214 offset:2560
	s_wait_dscnt 0x2
	v_mul_f64_e32 v[108:109], v[142:143], v[54:55]
	v_mul_f64_e32 v[110:111], v[142:143], v[52:53]
	scratch_load_b128 v[142:145], off, off offset:368 th:TH_LOAD_LU ; 16-byte Folded Reload
	v_mul_f64_e32 v[80:81], s[0:1], v[80:81]
	v_mul_f64_e32 v[82:83], s[0:1], v[82:83]
	v_fma_f64 v[88:89], v[112:113], v[36:37], v[88:89]
	v_fma_f64 v[90:91], v[112:113], v[38:39], -v[90:91]
	ds_load_b128 v[36:39], v214 offset:1280
	v_fma_f64 v[52:53], v[140:141], v[52:53], v[108:109]
	s_wait_loadcnt 0x1
	v_mul_f64_e32 v[114:115], v[138:139], v[0:1]
	v_mul_f64_e32 v[112:113], v[138:139], v[2:3]
	v_fma_f64 v[54:55], v[140:141], v[54:55], -v[110:111]
	v_mul_f64_e32 v[42:43], s[0:1], v[90:91]
	v_mul_f64_e32 v[52:53], s[0:1], v[52:53]
	s_delay_alu instid0(VALU_DEP_3)
	v_mul_f64_e32 v[54:55], s[0:1], v[54:55]
	s_wait_loadcnt 0x0
	v_mul_f64_e32 v[116:117], v[144:145], v[66:67]
	v_mul_f64_e32 v[118:119], v[144:145], v[64:65]
	scratch_load_b128 v[144:147], off, off offset:432 th:TH_LOAD_LU ; 16-byte Folded Reload
	s_wait_loadcnt 0x0
	v_mul_f64_e32 v[120:121], v[146:147], v[30:31]
	v_mul_f64_e32 v[122:123], v[146:147], v[28:29]
	scratch_load_b128 v[146:149], off, off offset:464 th:TH_LOAD_LU ; 16-byte Folded Reload
	s_clause 0x4
	global_store_b128 v[92:93], v[12:15], off
	global_store_b128 v[94:95], v[48:51], off
	;; [unrolled: 1-line block ×5, first 2 shown]
	v_mul_f64_e32 v[12:13], s[0:1], v[104:105]
	v_add_co_u32 v92, vcc_lo, v40, s2
	s_wait_alu 0xfffd
	v_add_co_ci_u32_e32 v93, vcc_lo, s3, v41, vcc_lo
	v_mul_f64_e32 v[40:41], s[0:1], v[88:89]
	v_fma_f64 v[82:83], v[142:143], v[66:67], -v[118:119]
	v_mul_f64_e32 v[14:15], s[0:1], v[106:107]
	v_fma_f64 v[78:79], v[136:137], v[2:3], -v[114:115]
	v_fma_f64 v[76:77], v[136:137], v[0:1], v[112:113]
	v_fma_f64 v[80:81], v[142:143], v[64:65], v[116:117]
	ds_load_b128 v[0:3], v214 offset:4096
	ds_load_b128 v[48:51], v214 offset:4352
	;; [unrolled: 1-line block ×3, first 2 shown]
	v_add_co_u32 v106, vcc_lo, v92, s2
	s_wait_alu 0xfffd
	v_add_co_ci_u32_e32 v107, vcc_lo, s3, v93, vcc_lo
	v_fma_f64 v[88:89], v[144:145], v[28:29], v[120:121]
	v_fma_f64 v[90:91], v[144:145], v[30:31], -v[122:123]
	scratch_load_b128 v[118:121], off, off offset:304 th:TH_LOAD_LU ; 16-byte Folded Reload
	v_mul_f64_e32 v[28:29], s[0:1], v[96:97]
	v_mul_f64_e32 v[30:31], s[0:1], v[98:99]
	v_add_co_u32 v96, vcc_lo, v106, s2
	s_wait_alu 0xfffd
	v_add_co_ci_u32_e32 v97, vcc_lo, s3, v107, vcc_lo
	s_delay_alu instid0(VALU_DEP_2)
	v_add_co_u32 v110, vcc_lo, v96, s2
	v_mul_f64_e32 v[66:67], s[0:1], v[78:79]
	global_store_b128 v[92:93], v[12:15], off
	ds_load_b128 v[12:15], v214 offset:5888
	global_store_b128 v[106:107], v[40:43], off
	v_mul_f64_e32 v[64:65], s[0:1], v[76:77]
	s_wait_alu 0xfffd
	v_add_co_ci_u32_e32 v111, vcc_lo, s3, v97, vcc_lo
	v_add_co_u32 v116, vcc_lo, v110, s2
	s_wait_alu 0xfffd
	s_delay_alu instid0(VALU_DEP_2) | instskip(SKIP_2) | instid1(VALU_DEP_3)
	v_add_co_ci_u32_e32 v117, vcc_lo, s3, v111, vcc_lo
	v_mul_f64_e32 v[76:77], s[0:1], v[88:89]
	v_mul_f64_e32 v[78:79], s[0:1], v[90:91]
	v_mad_co_u64_u32 v[88:89], null, 0xffffe600, s4, v[116:117]
	global_store_b128 v[96:97], v[28:31], off
	global_store_b128 v[110:111], v[44:47], off
	s_wait_alu 0xfffe
	v_add_nc_u32_e32 v89, s5, v89
	v_add_co_u32 v28, vcc_lo, v88, s2
	s_wait_alu 0xfffd
	s_delay_alu instid0(VALU_DEP_2) | instskip(SKIP_3) | instid1(VALU_DEP_2)
	v_add_co_ci_u32_e32 v29, vcc_lo, s3, v89, vcc_lo
	s_wait_loadcnt_dscnt 0x105
	v_mul_f64_e32 v[124:125], v[148:149], v[74:75]
	v_mul_f64_e32 v[126:127], v[148:149], v[72:73]
	v_fma_f64 v[94:95], v[146:147], v[72:73], v[124:125]
	scratch_load_b128 v[122:125], off, off offset:352 th:TH_LOAD_LU ; 16-byte Folded Reload
	v_fma_f64 v[100:101], v[146:147], v[74:75], -v[126:127]
	v_mul_f64_e32 v[72:73], s[0:1], v[80:81]
	v_mul_f64_e32 v[74:75], s[0:1], v[82:83]
	;; [unrolled: 1-line block ×3, first 2 shown]
	s_delay_alu instid0(VALU_DEP_4)
	v_mul_f64_e32 v[82:83], s[0:1], v[100:101]
	s_wait_loadcnt 0x0
	v_mul_f64_e32 v[102:103], v[124:125], v[34:35]
	v_mul_f64_e32 v[104:105], v[124:125], v[32:33]
	scratch_load_b128 v[124:127], off, off offset:496 th:TH_LOAD_LU ; 16-byte Folded Reload
	v_fma_f64 v[32:33], v[122:123], v[32:33], v[102:103]
	v_fma_f64 v[34:35], v[122:123], v[34:35], -v[104:105]
	scratch_load_b128 v[102:105], off, off offset:320 th:TH_LOAD_LU ; 16-byte Folded Reload
	s_wait_dscnt 0x3
	v_mul_f64_e32 v[98:99], v[120:121], v[2:3]
	v_mul_f64_e32 v[108:109], v[120:121], v[0:1]
	s_delay_alu instid0(VALU_DEP_2) | instskip(NEXT) | instid1(VALU_DEP_2)
	v_fma_f64 v[94:95], v[118:119], v[0:1], v[98:99]
	v_fma_f64 v[96:97], v[118:119], v[2:3], -v[108:109]
	ds_load_b128 v[0:3], v214 offset:7168
	s_wait_loadcnt_dscnt 0x2
	v_mul_f64_e32 v[90:91], v[104:105], v[58:59]
	v_mul_f64_e32 v[40:41], v[104:105], v[56:57]
	scratch_load_b128 v[104:107], off, off offset:400 th:TH_LOAD_LU ; 16-byte Folded Reload
	v_mul_f64_e32 v[112:113], v[126:127], v[26:27]
	v_mul_f64_e32 v[114:115], v[126:127], v[24:25]
	v_fma_f64 v[44:45], v[102:103], v[56:57], v[90:91]
	s_delay_alu instid0(VALU_DEP_3) | instskip(SKIP_4) | instid1(VALU_DEP_3)
	v_fma_f64 v[98:99], v[124:125], v[24:25], v[112:113]
	v_add_co_u32 v24, vcc_lo, v28, s2
	s_wait_alu 0xfffd
	v_add_co_ci_u32_e32 v25, vcc_lo, s3, v29, vcc_lo
	v_fma_f64 v[100:101], v[124:125], v[26:27], -v[114:115]
	v_add_co_u32 v30, vcc_lo, v24, s2
	s_wait_alu 0xfffd
	s_delay_alu instid0(VALU_DEP_3)
	v_add_co_ci_u32_e32 v31, vcc_lo, s3, v25, vcc_lo
	global_store_b128 v[116:117], v[52:55], off
	global_store_b128 v[88:89], v[64:67], off
	;; [unrolled: 1-line block ×5, first 2 shown]
	scratch_load_b128 v[116:119], off, off offset:224 th:TH_LOAD_LU ; 16-byte Folded Reload
	v_fma_f64 v[54:55], v[102:103], v[58:59], -v[40:41]
	v_mul_f64_e32 v[24:25], s[0:1], v[32:33]
	v_mul_f64_e32 v[26:27], s[0:1], v[34:35]
	;; [unrolled: 1-line block ×4, first 2 shown]
	v_add_co_u32 v52, vcc_lo, v30, s2
	s_wait_alu 0xfffd
	v_add_co_ci_u32_e32 v53, vcc_lo, s3, v31, vcc_lo
	ds_load_b128 v[28:31], v214 offset:7424
	v_add_co_u32 v74, vcc_lo, v52, s2
	s_wait_alu 0xfffd
	v_add_co_ci_u32_e32 v75, vcc_lo, s3, v53, vcc_lo
	s_delay_alu instid0(VALU_DEP_2) | instskip(SKIP_1) | instid1(VALU_DEP_2)
	v_add_co_u32 v88, vcc_lo, v74, s2
	s_wait_alu 0xfffd
	v_add_co_ci_u32_e32 v89, vcc_lo, s3, v75, vcc_lo
	v_mul_f64_e32 v[44:45], s[0:1], v[44:45]
	v_mul_f64_e32 v[40:41], s[0:1], v[98:99]
	global_store_b128 v[52:53], v[24:27], off
	s_wait_loadcnt 0x1
	v_mul_f64_e32 v[42:43], v[106:107], v[70:71]
	v_mul_f64_e32 v[92:93], v[106:107], v[68:69]
	s_delay_alu instid0(VALU_DEP_2) | instskip(NEXT) | instid1(VALU_DEP_2)
	v_fma_f64 v[56:57], v[104:105], v[68:69], v[42:43]
	v_fma_f64 v[64:65], v[104:105], v[70:71], -v[92:93]
	v_mul_f64_e32 v[42:43], s[0:1], v[100:101]
	s_wait_loadcnt_dscnt 0x1
	v_mul_f64_e32 v[46:47], v[118:119], v[2:3]
	v_mul_f64_e32 v[58:59], v[118:119], v[0:1]
	scratch_load_b128 v[118:121], off, off offset:240 th:TH_LOAD_LU ; 16-byte Folded Reload
	v_fma_f64 v[114:115], v[116:117], v[0:1], v[46:47]
	v_mul_f64_e32 v[46:47], s[0:1], v[54:55]
	v_fma_f64 v[54:55], v[116:117], v[2:3], -v[58:59]
	v_mul_f64_e32 v[0:1], s[0:1], v[56:57]
	v_mul_f64_e32 v[2:3], s[0:1], v[64:65]
	v_add_co_u32 v56, vcc_lo, v88, s2
	s_wait_alu 0xfffd
	v_add_co_ci_u32_e32 v57, vcc_lo, s3, v89, vcc_lo
	s_delay_alu instid0(VALU_DEP_2) | instskip(SKIP_1) | instid1(VALU_DEP_2)
	v_add_co_u32 v58, vcc_lo, v56, s2
	s_wait_alu 0xfffd
	v_add_co_ci_u32_e32 v59, vcc_lo, s3, v57, vcc_lo
	s_wait_loadcnt 0x0
	v_mul_f64_e32 v[66:67], v[120:121], v[22:23]
	v_mul_f64_e32 v[68:69], v[120:121], v[20:21]
	scratch_load_b128 v[120:123], off, off offset:256 th:TH_LOAD_LU ; 16-byte Folded Reload
	v_fma_f64 v[20:21], v[118:119], v[20:21], v[66:67]
	v_fma_f64 v[22:23], v[118:119], v[22:23], -v[68:69]
	s_wait_loadcnt 0x0
	v_mul_f64_e32 v[70:71], v[122:123], v[38:39]
	v_mul_f64_e32 v[72:73], v[122:123], v[36:37]
	scratch_load_b128 v[122:125], off, off offset:272 th:TH_LOAD_LU ; 16-byte Folded Reload
	v_fma_f64 v[36:37], v[120:121], v[36:37], v[70:71]
	v_fma_f64 v[38:39], v[120:121], v[38:39], -v[72:73]
	v_add_co_u32 v72, vcc_lo, v58, s2
	s_wait_alu 0xfffd
	v_add_co_ci_u32_e32 v73, vcc_lo, s3, v59, vcc_lo
	s_delay_alu instid0(VALU_DEP_1) | instskip(NEXT) | instid1(VALU_DEP_1)
	v_mad_co_u64_u32 v[52:53], null, 0xffffe600, s4, v[72:73]
	v_add_nc_u32_e32 v53, s5, v53
	s_wait_loadcnt 0x0
	v_mul_f64_e32 v[76:77], v[124:125], v[6:7]
	v_mul_f64_e32 v[78:79], v[124:125], v[4:5]
	scratch_load_b128 v[124:127], off, off offset:288 th:TH_LOAD_LU ; 16-byte Folded Reload
	v_fma_f64 v[64:65], v[122:123], v[4:5], v[76:77]
	v_fma_f64 v[66:67], v[122:123], v[6:7], -v[78:79]
	v_mul_f64_e32 v[4:5], s[0:1], v[114:115]
	v_mul_f64_e32 v[6:7], s[0:1], v[54:55]
	s_wait_loadcnt 0x0
	v_mul_f64_e32 v[80:81], v[126:127], v[86:87]
	v_mul_f64_e32 v[82:83], v[126:127], v[84:85]
	scratch_load_b128 v[126:129], off, off offset:336 th:TH_LOAD_LU ; 16-byte Folded Reload
	v_fma_f64 v[68:69], v[124:125], v[84:85], v[80:81]
	v_fma_f64 v[70:71], v[124:125], v[86:87], -v[82:83]
	s_wait_loadcnt 0x0
	v_mul_f64_e32 v[90:91], v[128:129], v[18:19]
	v_mul_f64_e32 v[92:93], v[128:129], v[16:17]
	scratch_load_b128 v[128:131], off, off offset:384 th:TH_LOAD_LU ; 16-byte Folded Reload
	v_fma_f64 v[76:77], v[126:127], v[16:17], v[90:91]
	v_fma_f64 v[78:79], v[126:127], v[18:19], -v[92:93]
	v_mul_f64_e32 v[16:17], s[0:1], v[68:69]
	v_mul_f64_e32 v[18:19], s[0:1], v[70:71]
	s_wait_loadcnt 0x0
	v_mul_f64_e32 v[94:95], v[130:131], v[50:51]
	v_mul_f64_e32 v[96:97], v[130:131], v[48:49]
	scratch_load_b128 v[130:133], off, off offset:416 th:TH_LOAD_LU ; 16-byte Folded Reload
	v_fma_f64 v[48:49], v[128:129], v[48:49], v[94:95]
	v_fma_f64 v[50:51], v[128:129], v[50:51], -v[96:97]
	s_delay_alu instid0(VALU_DEP_2) | instskip(NEXT) | instid1(VALU_DEP_2)
	v_mul_f64_e32 v[24:25], s[0:1], v[48:49]
	v_mul_f64_e32 v[26:27], s[0:1], v[50:51]
	s_wait_loadcnt 0x0
	v_mul_f64_e32 v[98:99], v[132:133], v[62:63]
	v_mul_f64_e32 v[100:101], v[132:133], v[60:61]
	scratch_load_b128 v[132:135], off, off offset:448 th:TH_LOAD_LU ; 16-byte Folded Reload
	v_fma_f64 v[60:61], v[130:131], v[60:61], v[98:99]
	v_fma_f64 v[62:63], v[130:131], v[62:63], -v[100:101]
	s_wait_loadcnt 0x0
	v_mul_f64_e32 v[102:103], v[134:135], v[14:15]
	v_mul_f64_e32 v[104:105], v[134:135], v[12:13]
	scratch_load_b128 v[134:137], off, off offset:480 th:TH_LOAD_LU ; 16-byte Folded Reload
	v_fma_f64 v[80:81], v[132:133], v[12:13], v[102:103]
	v_fma_f64 v[82:83], v[132:133], v[14:15], -v[104:105]
	v_mul_f64_e32 v[12:13], s[0:1], v[64:65]
	v_mul_f64_e32 v[14:15], s[0:1], v[66:67]
	s_wait_loadcnt 0x0
	v_mul_f64_e32 v[106:107], v[136:137], v[10:11]
	v_mul_f64_e32 v[108:109], v[136:137], v[8:9]
	scratch_load_b128 v[136:139], off, off offset:512 th:TH_LOAD_LU ; 16-byte Folded Reload
	global_store_b128 v[74:75], v[32:35], off
	global_store_b128 v[88:89], v[40:43], off
	;; [unrolled: 1-line block ×4, first 2 shown]
	v_mul_f64_e32 v[0:1], s[0:1], v[36:37]
	v_mul_f64_e32 v[2:3], s[0:1], v[38:39]
	v_add_co_u32 v44, vcc_lo, v52, s2
	s_wait_alu 0xfffd
	v_add_co_ci_u32_e32 v45, vcc_lo, s3, v53, vcc_lo
	v_mul_f64_e32 v[32:33], s[0:1], v[80:81]
	s_delay_alu instid0(VALU_DEP_3) | instskip(SKIP_1) | instid1(VALU_DEP_3)
	v_add_co_u32 v46, vcc_lo, v44, s2
	s_wait_alu 0xfffd
	v_add_co_ci_u32_e32 v47, vcc_lo, s3, v45, vcc_lo
	v_mul_f64_e32 v[34:35], s[0:1], v[82:83]
	s_delay_alu instid0(VALU_DEP_3) | instskip(SKIP_1) | instid1(VALU_DEP_3)
	v_add_co_u32 v48, vcc_lo, v46, s2
	s_wait_alu 0xfffd
	v_add_co_ci_u32_e32 v49, vcc_lo, s3, v47, vcc_lo
	global_store_b128 v[72:73], v[4:7], off
	v_add_co_u32 v4, vcc_lo, v48, s2
	s_wait_alu 0xfffd
	v_add_co_ci_u32_e32 v5, vcc_lo, s3, v49, vcc_lo
	s_delay_alu instid0(VALU_DEP_2) | instskip(SKIP_1) | instid1(VALU_DEP_2)
	v_add_co_u32 v6, vcc_lo, v4, s2
	s_wait_alu 0xfffd
	v_add_co_ci_u32_e32 v7, vcc_lo, s3, v5, vcc_lo
	v_fma_f64 v[84:85], v[134:135], v[8:9], v[106:107]
	v_fma_f64 v[86:87], v[134:135], v[10:11], -v[108:109]
	v_mul_f64_e32 v[8:9], s[0:1], v[20:21]
	v_mul_f64_e32 v[10:11], s[0:1], v[22:23]
	;; [unrolled: 1-line block ×6, first 2 shown]
	global_store_b128 v[52:53], v[8:11], off
	global_store_b128 v[44:45], v[0:3], off
	v_add_co_u32 v0, vcc_lo, v6, s2
	s_wait_alu 0xfffd
	v_add_co_ci_u32_e32 v1, vcc_lo, s3, v7, vcc_lo
	global_store_b128 v[46:47], v[12:15], off
	v_add_co_u32 v2, vcc_lo, v0, s2
	s_wait_alu 0xfffd
	v_add_co_ci_u32_e32 v3, vcc_lo, s3, v1, vcc_lo
	;; [unrolled: 4-line block ×4, first 2 shown]
	s_wait_loadcnt_dscnt 0x0
	v_mul_f64_e32 v[110:111], v[138:139], v[30:31]
	v_mul_f64_e32 v[112:113], v[138:139], v[28:29]
	s_delay_alu instid0(VALU_DEP_2) | instskip(NEXT) | instid1(VALU_DEP_2)
	v_fma_f64 v[90:91], v[136:137], v[28:29], v[110:111]
	v_fma_f64 v[92:93], v[136:137], v[30:31], -v[112:113]
	v_mul_f64_e32 v[28:29], s[0:1], v[60:61]
	v_mul_f64_e32 v[30:31], s[0:1], v[62:63]
	s_delay_alu instid0(VALU_DEP_4) | instskip(NEXT) | instid1(VALU_DEP_4)
	v_mul_f64_e32 v[40:41], s[0:1], v[90:91]
	v_mul_f64_e32 v[42:43], s[0:1], v[92:93]
	global_store_b128 v[6:7], v[24:27], off
	global_store_b128 v[0:1], v[28:31], off
	;; [unrolled: 1-line block ×5, first 2 shown]
.LBB0_10:
	s_nop 0
	s_sendmsg sendmsg(MSG_DEALLOC_VGPRS)
	s_endpgm
	.section	.rodata,"a",@progbits
	.p2align	6, 0x0
	.amdhsa_kernel bluestein_single_back_len480_dim1_dp_op_CI_CI
		.amdhsa_group_segment_fixed_size 30720
		.amdhsa_private_segment_fixed_size 1076
		.amdhsa_kernarg_size 104
		.amdhsa_user_sgpr_count 2
		.amdhsa_user_sgpr_dispatch_ptr 0
		.amdhsa_user_sgpr_queue_ptr 0
		.amdhsa_user_sgpr_kernarg_segment_ptr 1
		.amdhsa_user_sgpr_dispatch_id 0
		.amdhsa_user_sgpr_private_segment_size 0
		.amdhsa_wavefront_size32 1
		.amdhsa_uses_dynamic_stack 0
		.amdhsa_enable_private_segment 1
		.amdhsa_system_sgpr_workgroup_id_x 1
		.amdhsa_system_sgpr_workgroup_id_y 0
		.amdhsa_system_sgpr_workgroup_id_z 0
		.amdhsa_system_sgpr_workgroup_info 0
		.amdhsa_system_vgpr_workitem_id 0
		.amdhsa_next_free_vgpr 256
		.amdhsa_next_free_sgpr 22
		.amdhsa_reserve_vcc 1
		.amdhsa_float_round_mode_32 0
		.amdhsa_float_round_mode_16_64 0
		.amdhsa_float_denorm_mode_32 3
		.amdhsa_float_denorm_mode_16_64 3
		.amdhsa_fp16_overflow 0
		.amdhsa_workgroup_processor_mode 1
		.amdhsa_memory_ordered 1
		.amdhsa_forward_progress 0
		.amdhsa_round_robin_scheduling 0
		.amdhsa_exception_fp_ieee_invalid_op 0
		.amdhsa_exception_fp_denorm_src 0
		.amdhsa_exception_fp_ieee_div_zero 0
		.amdhsa_exception_fp_ieee_overflow 0
		.amdhsa_exception_fp_ieee_underflow 0
		.amdhsa_exception_fp_ieee_inexact 0
		.amdhsa_exception_int_div_zero 0
	.end_amdhsa_kernel
	.text
.Lfunc_end0:
	.size	bluestein_single_back_len480_dim1_dp_op_CI_CI, .Lfunc_end0-bluestein_single_back_len480_dim1_dp_op_CI_CI
                                        ; -- End function
	.section	.AMDGPU.csdata,"",@progbits
; Kernel info:
; codeLenInByte = 30204
; NumSgprs: 24
; NumVgprs: 256
; ScratchSize: 1076
; MemoryBound: 0
; FloatMode: 240
; IeeeMode: 1
; LDSByteSize: 30720 bytes/workgroup (compile time only)
; SGPRBlocks: 2
; VGPRBlocks: 31
; NumSGPRsForWavesPerEU: 24
; NumVGPRsForWavesPerEU: 256
; Occupancy: 2
; WaveLimiterHint : 1
; COMPUTE_PGM_RSRC2:SCRATCH_EN: 1
; COMPUTE_PGM_RSRC2:USER_SGPR: 2
; COMPUTE_PGM_RSRC2:TRAP_HANDLER: 0
; COMPUTE_PGM_RSRC2:TGID_X_EN: 1
; COMPUTE_PGM_RSRC2:TGID_Y_EN: 0
; COMPUTE_PGM_RSRC2:TGID_Z_EN: 0
; COMPUTE_PGM_RSRC2:TIDIG_COMP_CNT: 0
	.text
	.p2alignl 7, 3214868480
	.fill 96, 4, 3214868480
	.type	__hip_cuid_b0be798c2307ac83,@object ; @__hip_cuid_b0be798c2307ac83
	.section	.bss,"aw",@nobits
	.globl	__hip_cuid_b0be798c2307ac83
__hip_cuid_b0be798c2307ac83:
	.byte	0                               ; 0x0
	.size	__hip_cuid_b0be798c2307ac83, 1

	.ident	"AMD clang version 19.0.0git (https://github.com/RadeonOpenCompute/llvm-project roc-6.4.0 25133 c7fe45cf4b819c5991fe208aaa96edf142730f1d)"
	.section	".note.GNU-stack","",@progbits
	.addrsig
	.addrsig_sym __hip_cuid_b0be798c2307ac83
	.amdgpu_metadata
---
amdhsa.kernels:
  - .args:
      - .actual_access:  read_only
        .address_space:  global
        .offset:         0
        .size:           8
        .value_kind:     global_buffer
      - .actual_access:  read_only
        .address_space:  global
        .offset:         8
        .size:           8
        .value_kind:     global_buffer
      - .actual_access:  read_only
        .address_space:  global
        .offset:         16
        .size:           8
        .value_kind:     global_buffer
      - .actual_access:  read_only
        .address_space:  global
        .offset:         24
        .size:           8
        .value_kind:     global_buffer
      - .actual_access:  read_only
        .address_space:  global
        .offset:         32
        .size:           8
        .value_kind:     global_buffer
      - .offset:         40
        .size:           8
        .value_kind:     by_value
      - .address_space:  global
        .offset:         48
        .size:           8
        .value_kind:     global_buffer
      - .address_space:  global
        .offset:         56
        .size:           8
        .value_kind:     global_buffer
      - .address_space:  global
        .offset:         64
        .size:           8
        .value_kind:     global_buffer
      - .address_space:  global
        .offset:         72
        .size:           8
        .value_kind:     global_buffer
      - .offset:         80
        .size:           4
        .value_kind:     by_value
      - .address_space:  global
        .offset:         88
        .size:           8
        .value_kind:     global_buffer
      - .address_space:  global
        .offset:         96
        .size:           8
        .value_kind:     global_buffer
    .group_segment_fixed_size: 30720
    .kernarg_segment_align: 8
    .kernarg_segment_size: 104
    .language:       OpenCL C
    .language_version:
      - 2
      - 0
    .max_flat_workgroup_size: 64
    .name:           bluestein_single_back_len480_dim1_dp_op_CI_CI
    .private_segment_fixed_size: 1076
    .sgpr_count:     24
    .sgpr_spill_count: 0
    .symbol:         bluestein_single_back_len480_dim1_dp_op_CI_CI.kd
    .uniform_work_group_size: 1
    .uses_dynamic_stack: false
    .vgpr_count:     256
    .vgpr_spill_count: 282
    .wavefront_size: 32
    .workgroup_processor_mode: 1
amdhsa.target:   amdgcn-amd-amdhsa--gfx1201
amdhsa.version:
  - 1
  - 2
...

	.end_amdgpu_metadata
